;; amdgpu-corpus repo=ROCm/rocFFT kind=compiled arch=gfx906 opt=O3
	.text
	.amdgcn_target "amdgcn-amd-amdhsa--gfx906"
	.amdhsa_code_object_version 6
	.protected	bluestein_single_fwd_len351_dim1_sp_op_CI_CI ; -- Begin function bluestein_single_fwd_len351_dim1_sp_op_CI_CI
	.globl	bluestein_single_fwd_len351_dim1_sp_op_CI_CI
	.p2align	8
	.type	bluestein_single_fwd_len351_dim1_sp_op_CI_CI,@function
bluestein_single_fwd_len351_dim1_sp_op_CI_CI: ; @bluestein_single_fwd_len351_dim1_sp_op_CI_CI
; %bb.0:
	v_mul_u32_u24_e32 v1, 0x691, v0
	s_load_dwordx4 s[0:3], s[4:5], 0x28
	v_lshrrev_b32_e32 v1, 16, v1
	v_mad_u64_u32 v[48:49], s[6:7], s6, 3, v[1:2]
	v_mov_b32_e32 v49, 0
	s_waitcnt lgkmcnt(0)
	v_cmp_gt_u64_e32 vcc, s[0:1], v[48:49]
	s_and_saveexec_b64 s[0:1], vcc
	s_cbranch_execz .LBB0_15
; %bb.1:
	s_mov_b32 s0, 0xaaaaaaab
	v_mul_hi_u32 v2, v48, s0
	v_mul_lo_u16_e32 v1, 39, v1
	s_load_dwordx2 s[6:7], s[4:5], 0x0
	s_load_dwordx2 s[8:9], s[4:5], 0x38
	v_sub_u16_e32 v56, v0, v1
	v_lshrrev_b32_e32 v0, 1, v2
	v_lshl_add_u32 v0, v0, 1, v0
	v_sub_u32_e32 v0, v48, v0
	v_mul_u32_u24_e32 v30, 0x15f, v0
	v_cmp_gt_u16_e32 vcc, 27, v56
	v_lshlrev_b32_e32 v55, 3, v56
	v_lshlrev_b32_e32 v57, 3, v30
	s_and_saveexec_b64 s[10:11], vcc
	s_cbranch_execz .LBB0_3
; %bb.2:
	s_load_dwordx2 s[0:1], s[4:5], 0x18
	s_waitcnt lgkmcnt(0)
	s_load_dwordx4 s[12:15], s[0:1], 0x0
	s_waitcnt lgkmcnt(0)
	v_mad_u64_u32 v[0:1], s[0:1], s14, v48, 0
	v_mad_u64_u32 v[2:3], s[0:1], s12, v56, 0
	;; [unrolled: 1-line block ×4, first 2 shown]
	v_mov_b32_e32 v1, v4
	v_lshlrev_b64 v[0:1], 3, v[0:1]
	v_mov_b32_e32 v3, v5
	v_mov_b32_e32 v6, s3
	v_lshlrev_b64 v[2:3], 3, v[2:3]
	v_add_co_u32_e64 v0, s[0:1], s2, v0
	v_addc_co_u32_e64 v1, s[0:1], v6, v1, s[0:1]
	v_add_co_u32_e64 v0, s[0:1], v0, v2
	v_addc_co_u32_e64 v1, s[0:1], v1, v3, s[0:1]
	s_mul_i32 s0, s13, 0xd8
	s_mul_hi_u32 s1, s12, 0xd8
	s_add_i32 s2, s1, s0
	s_mul_i32 s3, s12, 0xd8
	v_mov_b32_e32 v3, s2
	v_add_co_u32_e64 v2, s[0:1], s3, v0
	v_addc_co_u32_e64 v3, s[0:1], v1, v3, s[0:1]
	v_mov_b32_e32 v5, s2
	v_add_co_u32_e64 v4, s[0:1], s3, v2
	v_addc_co_u32_e64 v5, s[0:1], v3, v5, s[0:1]
	;; [unrolled: 3-line block ×3, first 2 shown]
	global_load_dwordx2 v[8:9], v[0:1], off
	global_load_dwordx2 v[10:11], v[2:3], off
	;; [unrolled: 1-line block ×4, first 2 shown]
	global_load_dwordx2 v[16:17], v55, s[6:7]
	global_load_dwordx2 v[18:19], v55, s[6:7] offset:216
	global_load_dwordx2 v[20:21], v55, s[6:7] offset:432
	;; [unrolled: 1-line block ×3, first 2 shown]
	v_mov_b32_e32 v1, s2
	v_add_co_u32_e64 v0, s[0:1], s3, v6
	v_addc_co_u32_e64 v1, s[0:1], v7, v1, s[0:1]
	global_load_dwordx2 v[2:3], v[0:1], off
	v_mov_b32_e32 v4, s2
	v_add_co_u32_e64 v0, s[0:1], s3, v0
	v_addc_co_u32_e64 v1, s[0:1], v1, v4, s[0:1]
	global_load_dwordx2 v[4:5], v[0:1], off
	;; [unrolled: 4-line block ×4, first 2 shown]
	global_load_dwordx2 v[26:27], v55, s[6:7] offset:864
	global_load_dwordx2 v[28:29], v55, s[6:7] offset:1080
	;; [unrolled: 1-line block ×4, first 2 shown]
	v_mov_b32_e32 v35, s2
	v_add_co_u32_e64 v0, s[0:1], s3, v0
	v_addc_co_u32_e64 v1, s[0:1], v1, v35, s[0:1]
	global_load_dwordx2 v[35:36], v[0:1], off
	global_load_dwordx2 v[37:38], v55, s[6:7] offset:1728
	v_mov_b32_e32 v39, s2
	v_add_co_u32_e64 v0, s[0:1], s3, v0
	v_addc_co_u32_e64 v1, s[0:1], v1, v39, s[0:1]
	global_load_dwordx2 v[39:40], v[0:1], off
	v_mov_b32_e32 v41, s2
	v_add_co_u32_e64 v0, s[0:1], s3, v0
	v_addc_co_u32_e64 v1, s[0:1], v1, v41, s[0:1]
	global_load_dwordx2 v[41:42], v[0:1], off
	global_load_dwordx2 v[43:44], v55, s[6:7] offset:1944
	global_load_dwordx2 v[45:46], v55, s[6:7] offset:2160
	v_mov_b32_e32 v47, s2
	v_add_co_u32_e64 v0, s[0:1], s3, v0
	v_addc_co_u32_e64 v1, s[0:1], v1, v47, s[0:1]
	global_load_dwordx2 v[49:50], v[0:1], off
	global_load_dwordx2 v[51:52], v55, s[6:7] offset:2376
	v_add_co_u32_e64 v0, s[0:1], s3, v0
	v_addc_co_u32_e64 v1, s[0:1], v1, v47, s[0:1]
	global_load_dwordx2 v[53:54], v[0:1], off
	global_load_dwordx2 v[58:59], v55, s[6:7] offset:2592
	s_waitcnt vmcnt(21)
	v_mul_f32_e32 v0, v9, v17
	v_mul_f32_e32 v1, v8, v17
	v_fmac_f32_e32 v0, v8, v16
	v_fma_f32 v1, v9, v16, -v1
	v_lshl_add_u32 v8, v56, 3, v57
	ds_write_b64 v8, v[0:1]
	s_waitcnt vmcnt(20)
	v_mul_f32_e32 v0, v11, v19
	v_mul_f32_e32 v1, v10, v19
	s_waitcnt vmcnt(19)
	v_mul_f32_e32 v8, v13, v21
	v_mul_f32_e32 v9, v12, v21
	v_fmac_f32_e32 v0, v10, v18
	v_add_u32_e32 v16, v57, v55
	v_fma_f32 v1, v11, v18, -v1
	v_fmac_f32_e32 v8, v12, v20
	v_fma_f32 v9, v13, v20, -v9
	ds_write2_b64 v16, v[0:1], v[8:9] offset0:27 offset1:54
	s_waitcnt vmcnt(18)
	v_mul_f32_e32 v0, v15, v23
	v_mul_f32_e32 v1, v14, v23
	v_fmac_f32_e32 v0, v14, v22
	v_fma_f32 v1, v15, v22, -v1
	s_waitcnt vmcnt(13)
	v_mul_f32_e32 v8, v3, v27
	v_fmac_f32_e32 v8, v2, v26
	v_mul_f32_e32 v2, v2, v27
	v_fma_f32 v9, v3, v26, -v2
	ds_write2_b64 v16, v[0:1], v[8:9] offset0:81 offset1:108
	s_waitcnt vmcnt(12)
	v_mul_f32_e32 v0, v5, v29
	v_mul_f32_e32 v1, v4, v29
	s_waitcnt vmcnt(11)
	v_mul_f32_e32 v2, v7, v32
	v_mul_f32_e32 v3, v6, v32
	v_fmac_f32_e32 v0, v4, v28
	v_fma_f32 v1, v5, v28, -v1
	v_fmac_f32_e32 v2, v6, v31
	v_fma_f32 v3, v7, v31, -v3
	ds_write2_b64 v16, v[0:1], v[2:3] offset0:135 offset1:162
	s_waitcnt vmcnt(10)
	v_mul_f32_e32 v0, v25, v34
	v_mul_f32_e32 v1, v24, v34
	s_waitcnt vmcnt(8)
	v_mul_f32_e32 v2, v36, v38
	v_mul_f32_e32 v3, v35, v38
	v_fmac_f32_e32 v0, v24, v33
	v_fma_f32 v1, v25, v33, -v1
	v_fmac_f32_e32 v2, v35, v37
	;; [unrolled: 11-line block ×3, first 2 shown]
	v_fma_f32 v3, v42, v45, -v3
	v_add_u32_e32 v4, 0x400, v16
	ds_write2_b64 v4, v[0:1], v[2:3] offset0:115 offset1:142
	s_waitcnt vmcnt(2)
	v_mul_f32_e32 v0, v50, v52
	v_mul_f32_e32 v1, v49, v52
	s_waitcnt vmcnt(0)
	v_mul_f32_e32 v2, v54, v59
	v_mul_f32_e32 v3, v53, v59
	v_fmac_f32_e32 v0, v49, v51
	v_fma_f32 v1, v50, v51, -v1
	v_fmac_f32_e32 v2, v53, v58
	v_fma_f32 v3, v54, v58, -v3
	v_add_u32_e32 v4, 0x800, v16
	ds_write2_b64 v4, v[0:1], v[2:3] offset0:41 offset1:68
.LBB0_3:
	s_or_b64 exec, exec, s[10:11]
	s_load_dwordx2 s[0:1], s[4:5], 0x20
	s_load_dwordx2 s[10:11], s[4:5], 0x8
	v_mov_b32_e32 v4, 0
	v_mov_b32_e32 v5, 0
	s_waitcnt lgkmcnt(0)
	s_barrier
	s_waitcnt lgkmcnt(0)
                                        ; implicit-def: $vgpr10
                                        ; implicit-def: $vgpr12
                                        ; implicit-def: $vgpr24
                                        ; implicit-def: $vgpr28
                                        ; implicit-def: $vgpr22
                                        ; implicit-def: $vgpr18
	s_and_saveexec_b64 s[2:3], vcc
	s_cbranch_execz .LBB0_5
; %bb.4:
	v_lshl_add_u32 v0, v30, 3, v55
	ds_read2_b64 v[4:7], v0 offset1:27
	ds_read2_b64 v[16:19], v0 offset0:54 offset1:81
	ds_read2_b64 v[20:23], v0 offset0:108 offset1:135
	ds_read2_b64 v[8:11], v0 offset0:162 offset1:189
	ds_read2_b64 v[12:15], v0 offset0:216 offset1:243
	v_add_u32_e32 v1, 0x800, v0
	ds_read2_b64 v[24:27], v1 offset0:14 offset1:41
	ds_read_b64 v[28:29], v0 offset:2592
.LBB0_5:
	s_or_b64 exec, exec, s[2:3]
	s_waitcnt lgkmcnt(0)
	v_sub_f32_e32 v64, v7, v29
	v_mul_f32_e32 v37, 0xbeedf032, v64
	v_sub_f32_e32 v71, v17, v27
	v_add_f32_e32 v31, v28, v6
	v_sub_f32_e32 v68, v6, v28
	v_mov_b32_e32 v0, v37
	v_mul_f32_e32 v41, 0xbf52af12, v71
	v_add_f32_e32 v32, v29, v7
	s_mov_b32 s4, 0x3f62ad3f
	v_mul_f32_e32 v39, 0xbeedf032, v68
	v_fmac_f32_e32 v0, 0x3f62ad3f, v31
	v_add_f32_e32 v33, v26, v16
	v_sub_f32_e32 v77, v16, v26
	v_mov_b32_e32 v2, v41
	v_add_f32_e32 v0, v0, v4
	v_fma_f32 v1, v32, s4, -v39
	s_mov_b32 s5, 0x3f116cb1
	v_add_f32_e32 v34, v27, v17
	v_mul_f32_e32 v43, 0xbf52af12, v77
	v_fmac_f32_e32 v2, 0x3f116cb1, v33
	v_sub_f32_e32 v80, v19, v25
	v_add_f32_e32 v1, v1, v5
	v_add_f32_e32 v0, v2, v0
	v_fma_f32 v2, v34, s5, -v43
	v_mul_f32_e32 v45, 0xbf7e222b, v80
	v_add_f32_e32 v1, v2, v1
	v_add_f32_e32 v35, v24, v18
	v_sub_f32_e32 v81, v18, v24
	v_mov_b32_e32 v2, v45
	s_mov_b32 s12, 0x3df6dbef
	v_add_f32_e32 v36, v25, v19
	v_mul_f32_e32 v47, 0xbf7e222b, v81
	v_fmac_f32_e32 v2, 0x3df6dbef, v35
	v_sub_f32_e32 v82, v21, v15
	v_add_f32_e32 v0, v2, v0
	v_fma_f32 v2, v36, s12, -v47
	v_mul_f32_e32 v54, 0xbf6f5d39, v82
	v_add_f32_e32 v1, v2, v1
	v_add_f32_e32 v38, v14, v20
	v_sub_f32_e32 v83, v20, v14
	v_mov_b32_e32 v2, v54
	s_mov_b32 s13, 0xbeb58ec6
	v_add_f32_e32 v40, v15, v21
	v_mul_f32_e32 v59, 0xbf6f5d39, v83
	v_fmac_f32_e32 v2, 0xbeb58ec6, v38
	v_sub_f32_e32 v84, v23, v13
	v_add_f32_e32 v0, v2, v0
	v_fma_f32 v2, v40, s13, -v59
	v_mul_f32_e32 v60, 0xbf29c268, v84
	v_add_f32_e32 v1, v2, v1
	v_add_f32_e32 v42, v12, v22
	v_sub_f32_e32 v91, v22, v12
	v_mov_b32_e32 v2, v60
	s_mov_b32 s15, 0xbf3f9e67
	v_add_f32_e32 v44, v13, v23
	v_mul_f32_e32 v61, 0xbf29c268, v91
	v_fmac_f32_e32 v2, 0xbf3f9e67, v42
	v_sub_f32_e32 v92, v9, v11
	v_add_f32_e32 v0, v2, v0
	v_fma_f32 v2, v44, s15, -v61
	v_mul_f32_e32 v62, 0xbe750f2a, v92
	v_add_f32_e32 v1, v2, v1
	v_add_f32_e32 v46, v10, v8
	v_mov_b32_e32 v2, v62
	v_sub_f32_e32 v93, v8, v10
	s_mov_b32 s14, 0xbf788fa5
	v_fmac_f32_e32 v2, 0xbf788fa5, v46
	v_add_f32_e32 v53, v11, v9
	v_mul_f32_e32 v63, 0xbe750f2a, v93
	v_mul_f32_e32 v65, 0xbf52af12, v64
	v_fma_f32 v3, v53, s14, -v63
	v_add_f32_e32 v2, v2, v0
	v_mov_b32_e32 v0, v65
	v_mul_f32_e32 v66, 0xbf6f5d39, v71
	v_add_f32_e32 v3, v3, v1
	v_fmac_f32_e32 v0, 0x3f116cb1, v31
	v_mov_b32_e32 v1, v66
	v_add_f32_e32 v0, v0, v4
	v_fmac_f32_e32 v1, 0xbeb58ec6, v33
	v_mul_f32_e32 v75, 0xbf52af12, v68
	v_add_f32_e32 v0, v1, v0
	v_fma_f32 v1, v32, s5, -v75
	v_mul_f32_e32 v73, 0xbf6f5d39, v77
	v_add_f32_e32 v1, v1, v5
	v_fma_f32 v49, v34, s13, -v73
	v_mul_f32_e32 v67, 0xbe750f2a, v80
	v_add_f32_e32 v1, v49, v1
	v_mov_b32_e32 v49, v67
	v_fmac_f32_e32 v49, 0xbf788fa5, v35
	v_mul_f32_e32 v74, 0xbe750f2a, v81
	v_add_f32_e32 v0, v49, v0
	v_fma_f32 v49, v36, s14, -v74
	v_mul_f32_e32 v69, 0x3f29c268, v82
	v_add_f32_e32 v1, v49, v1
	v_mov_b32_e32 v49, v69
	v_fmac_f32_e32 v49, 0xbf3f9e67, v38
	;; [unrolled: 7-line block ×4, first 2 shown]
	v_mul_f32_e32 v79, 0x3eedf032, v93
	v_add_f32_e32 v0, v49, v0
	v_fma_f32 v49, v53, s4, -v79
	v_mul_f32_e32 v85, 0xbf7e222b, v64
	v_add_f32_e32 v1, v49, v1
	v_mov_b32_e32 v49, v85
	v_mul_f32_e32 v86, 0xbe750f2a, v71
	v_fmac_f32_e32 v49, 0x3df6dbef, v31
	v_mov_b32_e32 v50, v86
	v_add_f32_e32 v49, v49, v4
	v_fmac_f32_e32 v50, 0xbf788fa5, v33
	v_mul_f32_e32 v94, 0xbf7e222b, v68
	v_add_f32_e32 v49, v50, v49
	v_fma_f32 v50, v32, s12, -v94
	v_mul_f32_e32 v95, 0xbe750f2a, v77
	v_add_f32_e32 v50, v50, v5
	v_fma_f32 v51, v34, s14, -v95
	v_mul_f32_e32 v87, 0x3f6f5d39, v80
	v_add_f32_e32 v50, v51, v50
	v_mov_b32_e32 v51, v87
	v_fmac_f32_e32 v51, 0xbeb58ec6, v35
	v_mul_f32_e32 v96, 0x3f6f5d39, v81
	v_add_f32_e32 v49, v51, v49
	v_fma_f32 v51, v36, s13, -v96
	v_mul_f32_e32 v88, 0x3eedf032, v82
	v_add_f32_e32 v50, v51, v50
	v_mov_b32_e32 v51, v88
	v_fmac_f32_e32 v51, 0x3f62ad3f, v38
	v_mul_f32_e32 v97, 0x3eedf032, v83
	v_add_f32_e32 v49, v51, v49
	v_fma_f32 v51, v40, s4, -v97
	v_mul_f32_e32 v89, 0xbf52af12, v84
	v_add_f32_e32 v50, v51, v50
	v_mov_b32_e32 v51, v89
	v_fmac_f32_e32 v51, 0x3f116cb1, v42
	v_mul_f32_e32 v98, 0xbf52af12, v91
	v_add_f32_e32 v49, v51, v49
	v_fma_f32 v51, v44, s5, -v98
	v_mul_f32_e32 v90, 0xbf29c268, v92
	v_add_f32_e32 v50, v51, v50
	v_mov_b32_e32 v51, v90
	v_fmac_f32_e32 v51, 0xbf3f9e67, v46
	v_mul_f32_e32 v99, 0xbf29c268, v93
	v_add_f32_e32 v49, v51, v49
	v_fma_f32 v51, v53, s15, -v99
	v_mul_f32_e32 v100, 0xbf6f5d39, v64
	v_add_f32_e32 v50, v51, v50
	v_mov_b32_e32 v51, v100
	v_mul_f32_e32 v101, 0x3f29c268, v71
	v_fmac_f32_e32 v51, 0xbeb58ec6, v31
	v_mov_b32_e32 v52, v101
	v_add_f32_e32 v51, v51, v4
	v_fmac_f32_e32 v52, 0xbf3f9e67, v33
	v_mul_f32_e32 v106, 0xbf6f5d39, v68
	v_add_f32_e32 v51, v52, v51
	v_fma_f32 v52, v32, s13, -v106
	v_mul_f32_e32 v107, 0x3f29c268, v77
	v_add_f32_e32 v52, v52, v5
	v_fma_f32 v58, v34, s15, -v107
	v_mul_f32_e32 v102, 0x3eedf032, v80
	v_add_f32_e32 v52, v58, v52
	v_mov_b32_e32 v58, v102
	v_fmac_f32_e32 v58, 0x3f62ad3f, v35
	v_mul_f32_e32 v108, 0x3eedf032, v81
	v_add_f32_e32 v51, v58, v51
	v_fma_f32 v58, v36, s4, -v108
	v_mul_f32_e32 v103, 0xbf7e222b, v82
	v_add_f32_e32 v52, v58, v52
	v_mov_b32_e32 v58, v103
	v_fmac_f32_e32 v58, 0x3df6dbef, v38
	;; [unrolled: 7-line block ×4, first 2 shown]
	v_mul_f32_e32 v111, 0x3f52af12, v93
	v_add_f32_e32 v51, v58, v51
	v_fma_f32 v58, v53, s5, -v111
	v_add_f32_e32 v52, v58, v52
	v_mul_lo_u16_e32 v58, 13, v56
	s_barrier
	s_and_saveexec_b64 s[2:3], vcc
	s_cbranch_execz .LBB0_7
; %bb.6:
	v_mul_f32_e32 v114, 0xbe750f2a, v68
	v_mov_b32_e32 v112, v114
	v_mul_f32_e32 v115, 0x3eedf032, v77
	v_fmac_f32_e32 v112, 0xbf788fa5, v32
	v_mov_b32_e32 v113, v115
	v_add_f32_e32 v112, v112, v5
	v_fmac_f32_e32 v113, 0x3f62ad3f, v34
	v_mul_f32_e32 v116, 0xbf29c268, v81
	v_add_f32_e32 v112, v113, v112
	v_mov_b32_e32 v113, v116
	v_fmac_f32_e32 v113, 0xbf3f9e67, v36
	v_mul_f32_e32 v117, 0x3f52af12, v83
	v_add_f32_e32 v112, v113, v112
	v_mov_b32_e32 v113, v117
	;; [unrolled: 4-line block ×3, first 2 shown]
	v_fmac_f32_e32 v113, 0xbeb58ec6, v44
	v_mul_f32_e32 v119, 0xbe750f2a, v64
	v_add_f32_e32 v112, v113, v112
	v_fma_f32 v113, v31, s14, -v119
	v_mul_f32_e32 v120, 0x3eedf032, v71
	v_add_f32_e32 v113, v113, v4
	v_fma_f32 v121, v33, s4, -v120
	v_add_f32_e32 v113, v121, v113
	v_mul_f32_e32 v121, 0xbf29c268, v80
	v_fma_f32 v122, v35, s15, -v121
	v_add_f32_e32 v113, v122, v113
	v_mul_f32_e32 v122, 0x3f52af12, v82
	;; [unrolled: 3-line block ×3, first 2 shown]
	v_fma_f32 v124, v42, s13, -v123
	v_mul_f32_e32 v125, 0x3f7e222b, v93
	v_add_f32_e32 v124, v124, v113
	v_mov_b32_e32 v113, v125
	v_fmac_f32_e32 v113, 0x3df6dbef, v53
	v_mul_f32_e32 v126, 0x3f7e222b, v92
	v_add_f32_e32 v113, v113, v112
	v_fma_f32 v112, v46, s12, -v126
	v_mul_f32_e32 v68, 0xbf29c268, v68
	v_add_f32_e32 v112, v112, v124
	v_mov_b32_e32 v124, v68
	v_mul_f32_e32 v77, 0x3f7e222b, v77
	v_fmac_f32_e32 v124, 0xbf3f9e67, v32
	v_mov_b32_e32 v127, v77
	v_add_f32_e32 v124, v124, v5
	v_fmac_f32_e32 v127, 0x3df6dbef, v34
	v_add_f32_e32 v124, v127, v124
	v_mul_f32_e32 v127, 0xbf52af12, v81
	v_mov_b32_e32 v81, v127
	v_fmac_f32_e32 v81, 0x3f116cb1, v36
	v_add_f32_e32 v81, v81, v124
	v_mul_f32_e32 v124, 0x3e750f2a, v83
	v_mov_b32_e32 v83, v124
	v_fmac_f32_e32 v83, 0xbf788fa5, v40
	v_mul_f32_e32 v91, 0x3eedf032, v91
	v_add_f32_e32 v81, v83, v81
	v_mov_b32_e32 v83, v91
	v_mul_f32_e32 v128, 0xbf29c268, v64
	v_fmac_f32_e32 v83, 0x3f62ad3f, v44
	v_fma_f32 v64, v31, s15, -v128
	v_mul_f32_e32 v71, 0x3f7e222b, v71
	v_add_f32_e32 v81, v83, v81
	v_add_f32_e32 v64, v64, v4
	v_fma_f32 v83, v33, s12, -v71
	v_mul_f32_e32 v129, 0xbf52af12, v80
	v_add_f32_e32 v64, v83, v64
	v_fma_f32 v80, v35, s5, -v129
	v_mul_f32_e32 v130, 0x3e750f2a, v82
	;; [unrolled: 3-line block ×4, first 2 shown]
	v_add_f32_e32 v64, v80, v64
	v_mov_b32_e32 v80, v93
	v_fmac_f32_e32 v80, 0xbeb58ec6, v53
	v_mul_f32_e32 v92, 0xbf6f5d39, v92
	v_add_f32_e32 v81, v80, v81
	v_fma_f32 v80, v46, s13, -v92
	v_add_f32_e32 v80, v80, v64
	v_mul_f32_e32 v64, 0xbeb58ec6, v32
	v_add_f32_e32 v64, v106, v64
	v_mul_f32_e32 v82, 0xbf3f9e67, v34
	v_mul_f32_e32 v83, 0xbeb58ec6, v31
	v_add_f32_e32 v82, v107, v82
	v_add_f32_e32 v64, v64, v5
	v_sub_f32_e32 v83, v83, v100
	v_mul_f32_e32 v84, 0xbf3f9e67, v33
	v_add_f32_e32 v64, v82, v64
	v_mul_f32_e32 v82, 0x3f62ad3f, v36
	v_sub_f32_e32 v84, v84, v101
	v_add_f32_e32 v83, v83, v4
	v_add_f32_e32 v82, v108, v82
	;; [unrolled: 1-line block ×3, first 2 shown]
	v_mul_f32_e32 v84, 0x3f62ad3f, v35
	v_add_f32_e32 v64, v82, v64
	v_mul_f32_e32 v82, 0x3df6dbef, v40
	v_sub_f32_e32 v84, v84, v102
	v_add_f32_e32 v82, v109, v82
	v_add_f32_e32 v83, v84, v83
	v_mul_f32_e32 v84, 0x3df6dbef, v38
	v_add_f32_e32 v64, v82, v64
	v_mul_f32_e32 v82, 0xbf788fa5, v44
	v_sub_f32_e32 v84, v84, v103
	v_add_f32_e32 v82, v110, v82
	v_add_f32_e32 v83, v84, v83
	;; [unrolled: 6-line block ×3, first 2 shown]
	v_mul_f32_e32 v83, 0x3f116cb1, v46
	v_sub_f32_e32 v100, v83, v105
	v_add_f32_e32 v83, v82, v64
	v_mul_f32_e32 v64, 0x3df6dbef, v32
	v_add_f32_e32 v82, v100, v84
	v_add_f32_e32 v64, v94, v64
	v_mul_f32_e32 v84, 0xbf788fa5, v34
	v_add_f32_e32 v84, v95, v84
	v_add_f32_e32 v64, v64, v5
	;; [unrolled: 1-line block ×3, first 2 shown]
	v_mul_f32_e32 v84, 0xbeb58ec6, v36
	v_add_f32_e32 v84, v96, v84
	v_add_f32_e32 v64, v84, v64
	v_mul_f32_e32 v84, 0x3f62ad3f, v40
	v_add_f32_e32 v84, v97, v84
	v_add_f32_e32 v64, v84, v64
	v_mul_f32_e32 v84, 0x3f116cb1, v44
	v_add_f32_e32 v84, v98, v84
	v_mul_f32_e32 v98, 0x3df6dbef, v31
	v_sub_f32_e32 v85, v98, v85
	v_mul_f32_e32 v98, 0xbf788fa5, v33
	v_sub_f32_e32 v86, v98, v86
	v_add_f32_e32 v85, v85, v4
	v_add_f32_e32 v85, v86, v85
	v_mul_f32_e32 v86, 0xbeb58ec6, v35
	v_sub_f32_e32 v86, v86, v87
	v_add_f32_e32 v85, v86, v85
	v_mul_f32_e32 v86, 0x3f62ad3f, v38
	v_sub_f32_e32 v86, v86, v88
	;; [unrolled: 3-line block ×3, first 2 shown]
	v_mul_f32_e32 v97, 0x3f116cb1, v32
	v_add_f32_e32 v64, v84, v64
	v_mul_f32_e32 v84, 0xbf3f9e67, v53
	v_add_f32_e32 v86, v86, v85
	;; [unrolled: 2-line block ×3, first 2 shown]
	v_add_f32_e32 v84, v99, v84
	v_mul_f32_e32 v89, 0xbeb58ec6, v34
	v_sub_f32_e32 v90, v85, v90
	v_add_f32_e32 v75, v75, v97
	v_add_f32_e32 v7, v7, v5
	;; [unrolled: 1-line block ×5, first 2 shown]
	v_mul_f32_e32 v90, 0xbf788fa5, v36
	v_add_f32_e32 v73, v73, v89
	v_add_f32_e32 v75, v75, v5
	;; [unrolled: 1-line block ×4, first 2 shown]
	v_mul_f32_e32 v95, 0x3f62ad3f, v32
	v_add_f32_e32 v73, v73, v75
	v_add_f32_e32 v74, v74, v90
	;; [unrolled: 1-line block ×4, first 2 shown]
	v_mul_f32_e32 v87, 0x3f116cb1, v34
	v_add_f32_e32 v73, v74, v73
	v_mul_f32_e32 v74, 0xbf3f9e67, v40
	v_add_f32_e32 v39, v39, v95
	v_add_f32_e32 v7, v21, v7
	;; [unrolled: 1-line block ×3, first 2 shown]
	v_mul_f32_e32 v86, 0x3df6dbef, v36
	v_add_f32_e32 v74, v76, v74
	v_add_f32_e32 v39, v39, v5
	v_add_f32_e32 v43, v43, v87
	v_add_f32_e32 v7, v23, v7
	v_add_f32_e32 v6, v8, v6
	v_fma_f32 v8, v32, s14, -v114
	v_mul_f32_e32 v75, 0xbeb58ec6, v40
	v_add_f32_e32 v73, v74, v73
	v_mul_f32_e32 v74, 0x3df6dbef, v44
	v_add_f32_e32 v39, v43, v39
	v_add_f32_e32 v43, v47, v86
	v_add_f32_e32 v7, v9, v7
	v_add_f32_e32 v8, v8, v5
	v_fma_f32 v9, v34, s4, -v115
	v_mul_f32_e32 v88, 0xbeb58ec6, v33
	v_add_f32_e32 v74, v78, v74
	v_mul_f32_e32 v78, 0xbf3f9e67, v44
	v_add_f32_e32 v39, v43, v39
	v_add_f32_e32 v43, v59, v75
	;; [unrolled: 1-line block ×3, first 2 shown]
	v_fma_f32 v9, v36, s15, -v116
	v_mul_f32_e32 v94, 0x3f62ad3f, v31
	v_sub_f32_e32 v66, v88, v66
	v_mul_f32_e32 v88, 0xbf788fa5, v53
	v_add_f32_e32 v39, v43, v39
	v_add_f32_e32 v43, v61, v78
	;; [unrolled: 1-line block ×3, first 2 shown]
	v_fma_f32 v9, v40, s5, -v117
	v_mul_f32_e32 v96, 0x3f116cb1, v31
	v_mul_f32_e32 v98, 0x3f116cb1, v33
	v_add_f32_e32 v39, v43, v39
	v_add_f32_e32 v43, v63, v88
	v_sub_f32_e32 v37, v94, v37
	v_add_f32_e32 v6, v10, v6
	v_add_f32_e32 v8, v9, v8
	v_fma_f32 v9, v44, s13, -v118
	v_fma_f32 v10, v32, s15, -v68
	v_mul_f32_e32 v99, 0x3df6dbef, v35
	v_sub_f32_e32 v65, v96, v65
	v_add_f32_e32 v61, v43, v39
	v_add_f32_e32 v37, v37, v4
	v_sub_f32_e32 v39, v98, v41
	v_add_f32_e32 v7, v11, v7
	v_add_f32_e32 v8, v9, v8
	v_fma_f32 v9, v53, s12, -v125
	v_fmac_f32_e32 v119, 0xbf788fa5, v31
	v_add_f32_e32 v5, v10, v5
	v_fma_f32 v10, v34, s12, -v77
	v_fmac_f32_e32 v128, 0xbf3f9e67, v31
	v_mul_f32_e32 v64, 0xbf788fa5, v35
	v_mul_f32_e32 v89, 0xbeb58ec6, v38
	v_add_f32_e32 v65, v65, v4
	v_add_f32_e32 v37, v39, v37
	v_sub_f32_e32 v39, v99, v45
	v_add_f32_e32 v7, v13, v7
	v_add_f32_e32 v6, v12, v6
	;; [unrolled: 1-line block ×4, first 2 shown]
	v_fmac_f32_e32 v120, 0x3f62ad3f, v33
	v_add_f32_e32 v5, v10, v5
	v_fma_f32 v10, v36, s5, -v127
	v_add_f32_e32 v4, v128, v4
	v_fmac_f32_e32 v71, 0x3df6dbef, v33
	v_mul_f32_e32 v90, 0xbf3f9e67, v38
	v_mul_f32_e32 v76, 0xbf3f9e67, v42
	v_add_f32_e32 v73, v74, v73
	v_mul_f32_e32 v74, 0x3f62ad3f, v53
	v_add_f32_e32 v66, v66, v65
	v_sub_f32_e32 v64, v64, v67
	v_add_f32_e32 v37, v39, v37
	v_sub_f32_e32 v39, v89, v54
	v_add_f32_e32 v7, v15, v7
	v_add_f32_e32 v6, v14, v6
	;; [unrolled: 1-line block ×3, first 2 shown]
	v_fmac_f32_e32 v121, 0xbf3f9e67, v35
	v_add_f32_e32 v5, v10, v5
	v_fma_f32 v10, v40, s14, -v124
	v_add_f32_e32 v4, v71, v4
	v_fmac_f32_e32 v129, 0x3f116cb1, v35
	v_add_f32_e32 v74, v79, v74
	v_mul_f32_e32 v79, 0x3df6dbef, v42
	v_mul_f32_e32 v96, 0xbf788fa5, v46
	v_add_f32_e32 v64, v64, v66
	v_sub_f32_e32 v66, v90, v69
	v_add_f32_e32 v37, v39, v37
	v_sub_f32_e32 v39, v76, v60
	v_add_f32_e32 v7, v25, v7
	v_add_f32_e32 v6, v24, v6
	;; [unrolled: 1-line block ×3, first 2 shown]
	v_fmac_f32_e32 v122, 0x3f116cb1, v38
	v_add_f32_e32 v5, v10, v5
	v_fma_f32 v10, v44, s4, -v91
	v_add_f32_e32 v4, v129, v4
	v_fmac_f32_e32 v130, 0xbf788fa5, v38
	v_mul_f32_e32 v97, 0x3f62ad3f, v46
	v_add_f32_e32 v64, v66, v64
	v_sub_f32_e32 v66, v79, v70
	v_add_f32_e32 v37, v39, v37
	v_sub_f32_e32 v39, v96, v62
	v_add_f32_e32 v7, v27, v7
	v_add_f32_e32 v6, v26, v6
	;; [unrolled: 1-line block ×3, first 2 shown]
	v_fmac_f32_e32 v123, 0xbeb58ec6, v42
	v_add_f32_e32 v5, v10, v5
	v_fma_f32 v10, v53, s13, -v93
	v_add_f32_e32 v4, v130, v4
	v_fmac_f32_e32 v131, 0x3f62ad3f, v42
	v_add_f32_e32 v64, v66, v64
	v_sub_f32_e32 v66, v97, v72
	v_add_f32_e32 v60, v39, v37
	v_add_f32_e32 v7, v29, v7
	;; [unrolled: 1-line block ×4, first 2 shown]
	v_fmac_f32_e32 v126, 0x3df6dbef, v46
	v_add_f32_e32 v5, v10, v5
	v_add_f32_e32 v4, v131, v4
	v_fmac_f32_e32 v92, 0xbeb58ec6, v46
	v_add_lshl_u32 v10, v30, v58, 3
	v_add_f32_e32 v65, v74, v73
	v_add_f32_e32 v64, v66, v64
	;; [unrolled: 1-line block ×4, first 2 shown]
	ds_write2_b64 v10, v[6:7], v[60:61] offset1:1
	ds_write2_b64 v10, v[64:65], v[84:85] offset0:2 offset1:3
	ds_write2_b64 v10, v[82:83], v[80:81] offset0:4 offset1:5
	;; [unrolled: 1-line block ×5, first 2 shown]
	ds_write_b64 v10, v[2:3] offset:96
.LBB0_7:
	s_or_b64 exec, exec, s[2:3]
	s_movk_i32 s4, 0x4f
	v_mul_lo_u16_sdwa v4, v56, s4 dst_sel:DWORD dst_unused:UNUSED_PAD src0_sel:BYTE_0 src1_sel:DWORD
	v_lshrrev_b16_e32 v35, 10, v4
	v_mul_lo_u16_e32 v4, 13, v35
	v_sub_u16_e32 v36, v56, v4
	v_add_u16_e32 v4, 39, v56
	v_mul_lo_u16_sdwa v5, v4, s4 dst_sel:DWORD dst_unused:UNUSED_PAD src0_sel:BYTE_0 src1_sel:DWORD
	v_lshrrev_b16_e32 v37, 10, v5
	v_mov_b32_e32 v12, 4
	v_mul_lo_u16_e32 v5, 13, v37
	v_lshlrev_b32_sdwa v13, v12, v36 dst_sel:DWORD dst_unused:UNUSED_PAD src0_sel:DWORD src1_sel:BYTE_0
	v_sub_u16_e32 v38, v4, v5
	s_load_dwordx4 s[0:3], s[0:1], 0x0
	s_waitcnt lgkmcnt(0)
	s_barrier
	v_lshlrev_b32_sdwa v14, v12, v38 dst_sel:DWORD dst_unused:UNUSED_PAD src0_sel:DWORD src1_sel:BYTE_0
	global_load_dwordx4 v[8:11], v13, s[10:11]
	global_load_dwordx4 v[4:7], v14, s[10:11]
	v_add_u16_e32 v13, 0x4e, v56
	v_mul_lo_u16_sdwa v14, v13, s4 dst_sel:DWORD dst_unused:UNUSED_PAD src0_sel:BYTE_0 src1_sel:DWORD
	v_lshrrev_b16_e32 v39, 10, v14
	v_mul_lo_u16_e32 v14, 13, v39
	v_sub_u16_e32 v40, v13, v14
	v_lshlrev_b32_sdwa v12, v12, v40 dst_sel:DWORD dst_unused:UNUSED_PAD src0_sel:DWORD src1_sel:BYTE_0
	global_load_dwordx4 v[12:15], v12, s[10:11]
	v_add_lshl_u32 v60, v30, v56, 3
	ds_read2_b64 v[16:19], v60 offset1:39
	ds_read2_b64 v[20:23], v60 offset0:78 offset1:117
	v_add_u32_e32 v41, 0x400, v60
	ds_read2_b64 v[24:27], v41 offset0:106 offset1:145
	ds_read2_b64 v[31:34], v60 offset0:156 offset1:195
	ds_read_b64 v[28:29], v60 offset:2496
	v_mul_u32_u24_e32 v35, 39, v35
	v_add_u32_sdwa v35, v35, v36 dst_sel:DWORD dst_unused:UNUSED_PAD src0_sel:DWORD src1_sel:BYTE_0
	s_waitcnt vmcnt(0) lgkmcnt(0)
	s_barrier
	s_mov_b32 s4, 0xbf248dbb
	v_mul_f32_e32 v42, v23, v9
	v_mul_f32_e32 v43, v22, v9
	;; [unrolled: 1-line block ×5, first 2 shown]
	v_fma_f32 v22, v22, v8, -v42
	v_fmac_f32_e32 v43, v23, v8
	v_fma_f32 v23, v24, v10, -v44
	v_mul_f32_e32 v63, v28, v15
	v_fmac_f32_e32 v45, v25, v10
	v_mul_f32_e32 v53, v27, v7
	v_mul_f32_e32 v59, v34, v13
	;; [unrolled: 1-line block ×4, first 2 shown]
	v_fmac_f32_e32 v54, v27, v6
	v_fmac_f32_e32 v63, v29, v14
	v_add_f32_e32 v27, v22, v23
	v_add_f32_e32 v29, v43, v45
	v_fma_f32 v25, v26, v6, -v53
	v_fma_f32 v42, v33, v12, -v59
	v_fmac_f32_e32 v61, v34, v12
	v_fma_f32 v34, v28, v14, -v62
	v_add_f32_e32 v26, v16, v22
	v_add_f32_e32 v28, v17, v43
	v_fma_f32 v16, -0.5, v27, v16
	v_fma_f32 v17, -0.5, v29, v17
	v_mul_f32_e32 v46, v32, v5
	v_mul_f32_e32 v47, v31, v5
	v_sub_f32_e32 v33, v43, v45
	v_sub_f32_e32 v43, v22, v23
	v_add_f32_e32 v62, v42, v34
	v_add_f32_e32 v22, v26, v23
	;; [unrolled: 1-line block ×3, first 2 shown]
	v_mov_b32_e32 v28, v16
	v_mov_b32_e32 v29, v17
	v_fma_f32 v24, v31, v4, -v46
	v_fmac_f32_e32 v47, v32, v4
	v_add_f32_e32 v59, v20, v42
	v_fmac_f32_e32 v16, 0xbf5db3d7, v33
	v_fmac_f32_e32 v28, 0x3f5db3d7, v33
	;; [unrolled: 1-line block ×3, first 2 shown]
	v_fma_f32 v20, -0.5, v62, v20
	v_add_lshl_u32 v62, v30, v35, 3
	v_add_f32_e32 v32, v24, v25
	v_sub_f32_e32 v44, v47, v54
	v_add_f32_e32 v46, v19, v47
	v_add_f32_e32 v47, v47, v54
	v_fmac_f32_e32 v17, 0x3f5db3d7, v43
	v_sub_f32_e32 v27, v61, v63
	v_mov_b32_e32 v33, v20
	ds_write2_b64 v62, v[22:23], v[28:29] offset1:13
	ds_write_b64 v62, v[16:17] offset:208
	v_mul_u32_u24_e32 v16, 39, v37
	v_add_f32_e32 v31, v18, v24
	v_fma_f32 v18, -0.5, v32, v18
	v_fmac_f32_e32 v19, -0.5, v47
	v_fmac_f32_e32 v33, 0x3f5db3d7, v27
	v_fmac_f32_e32 v20, 0xbf5db3d7, v27
	v_add_f32_e32 v27, v21, v61
	v_add_f32_e32 v43, v61, v63
	v_add_u32_sdwa v16, v16, v38 dst_sel:DWORD dst_unused:UNUSED_PAD src0_sel:DWORD src1_sel:BYTE_0
	v_sub_f32_e32 v53, v24, v25
	v_add_f32_e32 v24, v31, v25
	v_mov_b32_e32 v31, v18
	v_mov_b32_e32 v32, v19
	v_add_f32_e32 v27, v27, v63
	v_fmac_f32_e32 v21, -0.5, v43
	v_add_lshl_u32 v63, v30, v16, 3
	v_mul_u32_u24_e32 v16, 39, v39
	v_add_f32_e32 v25, v46, v54
	v_add_f32_e32 v26, v59, v34
	v_fmac_f32_e32 v31, 0x3f5db3d7, v44
	v_fmac_f32_e32 v32, 0xbf5db3d7, v53
	v_sub_f32_e32 v42, v42, v34
	v_mov_b32_e32 v34, v21
	v_add_u32_sdwa v16, v16, v40 dst_sel:DWORD dst_unused:UNUSED_PAD src0_sel:DWORD src1_sel:BYTE_0
	v_fmac_f32_e32 v18, 0xbf5db3d7, v44
	v_fmac_f32_e32 v19, 0x3f5db3d7, v53
	;; [unrolled: 1-line block ×4, first 2 shown]
	ds_write2_b64 v63, v[24:25], v[31:32] offset1:13
	ds_write_b64 v63, v[18:19] offset:208
	v_add_lshl_u32 v64, v30, v16, 3
	v_lshlrev_b32_e32 v32, 6, v56
	ds_write2_b64 v64, v[26:27], v[33:34] offset1:13
	ds_write_b64 v64, v[20:21] offset:208
	s_waitcnt lgkmcnt(0)
	s_barrier
	global_load_dwordx4 v[28:31], v32, s[10:11] offset:208
	global_load_dwordx4 v[24:27], v32, s[10:11] offset:224
	;; [unrolled: 1-line block ×4, first 2 shown]
	ds_read2_b64 v[42:45], v60 offset1:39
	ds_read2_b64 v[32:35], v60 offset0:78 offset1:117
	ds_read2_b64 v[36:39], v60 offset0:156 offset1:195
	;; [unrolled: 1-line block ×3, first 2 shown]
	ds_read_b64 v[40:41], v60 offset:2496
	s_waitcnt vmcnt(3) lgkmcnt(4)
	v_mul_f32_e32 v46, v45, v29
	v_mul_f32_e32 v47, v44, v29
	s_waitcnt vmcnt(2) lgkmcnt(2)
	v_mul_f32_e32 v69, v37, v27
	s_waitcnt vmcnt(0) lgkmcnt(0)
	v_mul_f32_e32 v77, v41, v19
	v_mul_f32_e32 v53, v33, v31
	;; [unrolled: 1-line block ×10, first 2 shown]
	v_fma_f32 v44, v44, v28, -v46
	v_fmac_f32_e32 v47, v45, v28
	v_fma_f32 v45, v36, v26, -v69
	v_fma_f32 v36, v40, v18, -v77
	v_mul_f32_e32 v76, v67, v17
	v_mul_f32_e32 v78, v40, v19
	v_fma_f32 v32, v32, v30, -v53
	v_fmac_f32_e32 v54, v33, v30
	v_fma_f32 v33, v34, v24, -v59
	v_fmac_f32_e32 v61, v35, v24
	v_fma_f32 v53, v38, v20, -v71
	v_fma_f32 v34, v65, v22, -v73
	v_fmac_f32_e32 v74, v66, v22
	v_fma_f32 v35, v67, v16, -v75
	v_add_f32_e32 v59, v44, v36
	v_sub_f32_e32 v44, v44, v36
	v_mul_f32_e32 v72, v38, v21
	v_fmac_f32_e32 v76, v68, v16
	v_fmac_f32_e32 v78, v41, v18
	v_add_f32_e32 v68, v33, v34
	v_add_f32_e32 v69, v61, v74
	v_sub_f32_e32 v73, v32, v35
	v_sub_f32_e32 v75, v33, v34
	;; [unrolled: 1-line block ×3, first 2 shown]
	v_mul_f32_e32 v34, 0x3f248dbb, v44
	v_sub_f32_e32 v74, v45, v53
	v_fmac_f32_e32 v70, v37, v26
	v_fmac_f32_e32 v72, v39, v20
	v_sub_f32_e32 v71, v47, v78
	v_fmac_f32_e32 v34, 0x3f7c1c5c, v73
	v_mul_f32_e32 v37, 0xbf248dbb, v74
	v_add_f32_e32 v65, v47, v78
	v_add_f32_e32 v66, v32, v35
	;; [unrolled: 1-line block ×3, first 2 shown]
	v_sub_f32_e32 v54, v54, v76
	v_mul_f32_e32 v35, 0x3f248dbb, v71
	v_fmac_f32_e32 v34, 0x3f5db3d7, v75
	v_sub_f32_e32 v76, v70, v72
	v_mov_b32_e32 v32, v42
	v_mov_b32_e32 v33, v43
	v_fmac_f32_e32 v37, 0x3f7c1c5c, v44
	v_fmac_f32_e32 v35, 0x3f7c1c5c, v54
	;; [unrolled: 1-line block ×5, first 2 shown]
	v_mul_f32_e32 v36, 0xbf248dbb, v76
	v_fmac_f32_e32 v37, 0xbf5db3d7, v75
	v_add_f32_e32 v40, v74, v44
	v_mul_f32_e32 v74, 0x3f7c1c5c, v74
	v_fmac_f32_e32 v35, 0x3f5db3d7, v61
	v_fmac_f32_e32 v32, 0x3e31d0d4, v66
	;; [unrolled: 1-line block ×5, first 2 shown]
	v_sub_f32_e32 v46, v40, v73
	v_fma_f32 v73, v73, s4, -v74
	v_fmac_f32_e32 v35, 0x3eaf1d44, v76
	v_fmac_f32_e32 v32, -0.5, v68
	v_fmac_f32_e32 v33, -0.5, v69
	v_add_f32_e32 v77, v45, v53
	v_add_f32_e32 v78, v70, v72
	v_fmac_f32_e32 v36, 0xbf5db3d7, v61
	v_add_f32_e32 v41, v76, v71
	v_add_f32_e32 v81, v66, v59
	;; [unrolled: 1-line block ×3, first 2 shown]
	v_mul_f32_e32 v76, 0x3f7c1c5c, v76
	v_fmac_f32_e32 v73, 0x3f5db3d7, v75
	v_fmac_f32_e32 v32, 0xbf708fb2, v77
	;; [unrolled: 1-line block ×4, first 2 shown]
	v_sub_f32_e32 v47, v41, v54
	v_fma_f32 v74, v54, s4, -v76
	v_fmac_f32_e32 v73, 0x3eaf1d44, v44
	v_add_f32_e32 v44, v68, v81
	v_add_f32_e32 v54, v69, v82
	;; [unrolled: 1-line block ×3, first 2 shown]
	v_sub_f32_e32 v33, v33, v34
	v_add_f32_e32 v44, v45, v44
	v_add_f32_e32 v45, v70, v54
	v_fma_f32 v38, -2.0, v35, v32
	v_fma_f32 v39, 2.0, v34, v33
	v_mov_b32_e32 v34, v42
	v_mov_b32_e32 v35, v43
	v_add_f32_e32 v44, v53, v44
	v_add_f32_e32 v45, v72, v45
	v_fmac_f32_e32 v34, 0x3f441b7d, v77
	v_fmac_f32_e32 v35, 0x3f441b7d, v78
	v_add_f32_e32 v40, v68, v42
	v_add_f32_e32 v41, v69, v43
	;; [unrolled: 1-line block ×4, first 2 shown]
	v_fmac_f32_e32 v42, 0x3f441b7d, v66
	v_fmac_f32_e32 v43, 0x3f441b7d, v67
	;; [unrolled: 1-line block ×6, first 2 shown]
	v_fmac_f32_e32 v34, -0.5, v68
	v_fmac_f32_e32 v35, -0.5, v69
	v_add_f32_e32 v83, v77, v81
	v_add_f32_e32 v84, v78, v82
	v_fmac_f32_e32 v74, 0x3f5db3d7, v61
	v_fmac_f32_e32 v42, -0.5, v68
	v_fmac_f32_e32 v43, -0.5, v69
	v_fmac_f32_e32 v34, 0xbf708fb2, v66
	v_fmac_f32_e32 v35, 0xbf708fb2, v67
	v_fmac_f32_e32 v40, -0.5, v83
	v_fmac_f32_e32 v41, -0.5, v84
	v_fmac_f32_e32 v74, 0x3eaf1d44, v71
	v_fmac_f32_e32 v42, 0xbf708fb2, v59
	;; [unrolled: 1-line block ×3, first 2 shown]
	v_add_f32_e32 v34, v36, v34
	v_sub_f32_e32 v35, v35, v37
	v_mul_f32_e32 v79, 0x3f5db3d7, v46
	v_mul_f32_e32 v80, 0x3f5db3d7, v47
	v_fmac_f32_e32 v40, 0x3f5db3d7, v47
	v_fmac_f32_e32 v41, 0xbf5db3d7, v46
	v_add_f32_e32 v42, v74, v42
	v_sub_f32_e32 v43, v43, v73
	v_lshl_add_u32 v59, v56, 3, v57
	v_fma_f32 v36, -2.0, v36, v34
	v_fma_f32 v37, 2.0, v37, v35
	v_fma_f32 v46, -2.0, v80, v40
	v_fma_f32 v47, 2.0, v79, v41
	;; [unrolled: 2-line block ×3, first 2 shown]
	v_lshl_add_u32 v61, v56, 3, v57
	v_add_u32_e32 v65, 0x800, v59
	ds_write_b64 v61, v[53:54]
	ds_write2_b64 v59, v[32:33], v[34:35] offset0:39 offset1:78
	ds_write2_b64 v59, v[40:41], v[42:43] offset0:117 offset1:156
	;; [unrolled: 1-line block ×4, first 2 shown]
	s_waitcnt lgkmcnt(0)
	s_barrier
	s_and_saveexec_b64 s[4:5], vcc
	s_cbranch_execz .LBB0_9
; %bb.8:
	global_load_dwordx2 v[66:67], v55, s[6:7] offset:2808
	s_add_u32 s10, s6, 0xaf8
	s_addc_u32 s11, s7, 0
	global_load_dwordx2 v[90:91], v55, s[10:11] offset:216
	global_load_dwordx2 v[92:93], v55, s[10:11] offset:432
	;; [unrolled: 1-line block ×12, first 2 shown]
	ds_read_b64 v[68:69], v61
	v_add_u32_e32 v115, 0x400, v59
	s_waitcnt vmcnt(12) lgkmcnt(0)
	v_mul_f32_e32 v70, v69, v67
	v_mul_f32_e32 v71, v68, v67
	v_fma_f32 v70, v68, v66, -v70
	v_fmac_f32_e32 v71, v69, v66
	ds_write_b64 v61, v[70:71]
	ds_read2_b64 v[66:69], v59 offset0:27 offset1:54
	ds_read2_b64 v[70:73], v59 offset0:81 offset1:108
	ds_read2_b64 v[74:77], v59 offset0:135 offset1:162
	ds_read2_b64 v[78:81], v59 offset0:189 offset1:216
	ds_read2_b64 v[82:85], v115 offset0:115 offset1:142
	ds_read2_b64 v[86:89], v65 offset0:41 offset1:68
	s_waitcnt vmcnt(11) lgkmcnt(5)
	v_mul_f32_e32 v116, v67, v91
	v_mul_f32_e32 v114, v66, v91
	s_waitcnt vmcnt(10)
	v_mul_f32_e32 v117, v69, v93
	v_mul_f32_e32 v91, v68, v93
	s_waitcnt vmcnt(9) lgkmcnt(4)
	v_mul_f32_e32 v118, v71, v95
	v_mul_f32_e32 v93, v70, v95
	s_waitcnt vmcnt(8)
	v_mul_f32_e32 v119, v73, v97
	v_mul_f32_e32 v95, v72, v97
	;; [unrolled: 6-line block ×6, first 2 shown]
	v_fma_f32 v113, v66, v90, -v116
	v_fmac_f32_e32 v114, v67, v90
	v_fma_f32 v90, v68, v92, -v117
	v_fmac_f32_e32 v91, v69, v92
	;; [unrolled: 2-line block ×12, first 2 shown]
	ds_write2_b64 v59, v[113:114], v[90:91] offset0:27 offset1:54
	ds_write2_b64 v59, v[92:93], v[94:95] offset0:81 offset1:108
	;; [unrolled: 1-line block ×6, first 2 shown]
.LBB0_9:
	s_or_b64 exec, exec, s[4:5]
	s_waitcnt lgkmcnt(0)
	s_barrier
	s_and_saveexec_b64 s[4:5], vcc
	s_cbranch_execz .LBB0_11
; %bb.10:
	v_add_u32_e32 v0, 0x400, v61
	ds_read_b64 v[53:54], v61
	ds_read2_b64 v[32:35], v61 offset0:27 offset1:54
	ds_read2_b64 v[40:43], v61 offset0:81 offset1:108
	;; [unrolled: 1-line block ×5, first 2 shown]
	v_add_u32_e32 v0, 0x800, v61
	ds_read2_b64 v[0:3], v0 offset0:41 offset1:68
	s_waitcnt lgkmcnt(3)
	v_mov_b32_e32 v51, v65
	v_mov_b32_e32 v52, v66
	;; [unrolled: 1-line block ×4, first 2 shown]
.LBB0_11:
	s_or_b64 exec, exec, s[4:5]
	s_waitcnt lgkmcnt(0)
	s_barrier
	s_and_saveexec_b64 s[4:5], vcc
	s_cbranch_execz .LBB0_13
; %bb.12:
	v_add_f32_e32 v75, v3, v33
	v_mul_f32_e32 v77, 0xbf788fa5, v75
	v_add_f32_e32 v76, v1, v35
	v_sub_f32_e32 v78, v32, v2
	v_mov_b32_e32 v65, v77
	v_mul_f32_e32 v79, 0x3f62ad3f, v76
	v_fmac_f32_e32 v65, 0x3e750f2a, v78
	v_sub_f32_e32 v80, v34, v0
	v_mov_b32_e32 v66, v79
	v_add_f32_e32 v81, v50, v41
	v_add_f32_e32 v65, v54, v65
	v_fmac_f32_e32 v66, 0xbeedf032, v80
	v_mul_f32_e32 v82, 0xbf3f9e67, v81
	v_add_f32_e32 v65, v66, v65
	v_sub_f32_e32 v83, v40, v49
	v_mov_b32_e32 v66, v82
	v_add_f32_e32 v84, v52, v43
	v_fmac_f32_e32 v66, 0x3f29c268, v83
	v_mul_f32_e32 v85, 0x3f116cb1, v84
	v_add_f32_e32 v65, v66, v65
	v_sub_f32_e32 v86, v42, v51
	v_mov_b32_e32 v66, v85
	v_add_f32_e32 v87, v39, v45
	v_fmac_f32_e32 v66, 0xbf52af12, v86
	v_mul_f32_e32 v88, 0xbeb58ec6, v87
	v_add_f32_e32 v65, v66, v65
	v_sub_f32_e32 v89, v44, v38
	v_mov_b32_e32 v66, v88
	v_add_f32_e32 v90, v37, v47
	v_fmac_f32_e32 v66, 0x3f6f5d39, v89
	v_mul_f32_e32 v91, 0x3df6dbef, v90
	v_add_f32_e32 v65, v66, v65
	v_sub_f32_e32 v92, v46, v36
	v_mov_b32_e32 v66, v91
	v_sub_f32_e32 v94, v33, v3
	v_fmac_f32_e32 v66, 0xbf7e222b, v92
	v_mul_f32_e32 v95, 0xbe750f2a, v94
	v_sub_f32_e32 v97, v35, v1
	v_add_f32_e32 v66, v66, v65
	v_add_f32_e32 v93, v2, v32
	v_mov_b32_e32 v65, v95
	v_mul_f32_e32 v98, 0x3eedf032, v97
	v_fmac_f32_e32 v65, 0xbf788fa5, v93
	v_add_f32_e32 v96, v0, v34
	v_mov_b32_e32 v67, v98
	v_sub_f32_e32 v100, v41, v50
	v_add_f32_e32 v65, v53, v65
	v_fmac_f32_e32 v67, 0x3f62ad3f, v96
	v_mul_f32_e32 v101, 0xbf29c268, v100
	v_add_f32_e32 v65, v67, v65
	v_add_f32_e32 v99, v49, v40
	v_mov_b32_e32 v67, v101
	v_sub_f32_e32 v103, v43, v52
	v_fmac_f32_e32 v67, 0xbf3f9e67, v99
	v_mul_f32_e32 v104, 0x3f52af12, v103
	v_add_f32_e32 v65, v67, v65
	v_add_f32_e32 v102, v51, v42
	v_mov_b32_e32 v67, v104
	v_sub_f32_e32 v106, v45, v39
	;; [unrolled: 6-line block ×3, first 2 shown]
	v_fmac_f32_e32 v67, 0xbeb58ec6, v105
	v_mul_f32_e32 v110, 0x3f7e222b, v109
	v_add_f32_e32 v65, v67, v65
	v_add_f32_e32 v108, v36, v46
	v_mov_b32_e32 v67, v110
	v_fmac_f32_e32 v67, 0x3df6dbef, v108
	v_mul_f32_e32 v111, 0xbf3f9e67, v75
	v_add_f32_e32 v65, v67, v65
	v_mov_b32_e32 v67, v111
	v_mul_f32_e32 v112, 0x3df6dbef, v76
	v_fmac_f32_e32 v67, 0x3f29c268, v78
	v_mov_b32_e32 v68, v112
	v_add_f32_e32 v67, v54, v67
	v_fmac_f32_e32 v68, 0xbf7e222b, v80
	v_mul_f32_e32 v113, 0x3f116cb1, v81
	v_add_f32_e32 v67, v68, v67
	v_mov_b32_e32 v68, v113
	v_fmac_f32_e32 v68, 0x3f52af12, v83
	v_mul_f32_e32 v114, 0xbf788fa5, v84
	v_add_f32_e32 v67, v68, v67
	v_mov_b32_e32 v68, v114
	v_fmac_f32_e32 v68, 0xbe750f2a, v86
	v_mul_f32_e32 v115, 0x3f62ad3f, v87
	v_add_f32_e32 v67, v68, v67
	v_mov_b32_e32 v68, v115
	v_fmac_f32_e32 v68, 0xbeedf032, v89
	v_mul_f32_e32 v116, 0xbeb58ec6, v90
	v_add_f32_e32 v67, v68, v67
	v_mov_b32_e32 v68, v116
	v_fmac_f32_e32 v68, 0x3f6f5d39, v92
	v_mul_f32_e32 v117, 0xbf29c268, v94
	v_add_f32_e32 v68, v68, v67
	v_mov_b32_e32 v67, v117
	v_mul_f32_e32 v118, 0x3f7e222b, v97
	v_fmac_f32_e32 v67, 0xbf3f9e67, v93
	v_mov_b32_e32 v69, v118
	v_add_f32_e32 v67, v53, v67
	v_fmac_f32_e32 v69, 0x3df6dbef, v96
	v_mul_f32_e32 v119, 0xbf52af12, v100
	v_add_f32_e32 v67, v69, v67
	v_mov_b32_e32 v69, v119
	v_fmac_f32_e32 v69, 0x3f116cb1, v99
	v_mul_f32_e32 v120, 0x3e750f2a, v103
	v_add_f32_e32 v67, v69, v67
	v_mov_b32_e32 v69, v120
	v_fmac_f32_e32 v69, 0xbf788fa5, v102
	v_mul_f32_e32 v121, 0x3eedf032, v106
	v_add_f32_e32 v67, v69, v67
	v_mov_b32_e32 v69, v121
	v_fmac_f32_e32 v69, 0x3f62ad3f, v105
	v_mul_f32_e32 v122, 0xbf6f5d39, v109
	v_add_f32_e32 v67, v69, v67
	v_mov_b32_e32 v69, v122
	v_fmac_f32_e32 v69, 0xbeb58ec6, v108
	v_mul_f32_e32 v123, 0xbeb58ec6, v75
	v_add_f32_e32 v67, v69, v67
	v_mov_b32_e32 v69, v123
	v_mul_f32_e32 v124, 0xbf3f9e67, v76
	v_fmac_f32_e32 v69, 0x3f6f5d39, v78
	v_mov_b32_e32 v70, v124
	v_add_f32_e32 v69, v54, v69
	v_fmac_f32_e32 v70, 0xbf29c268, v80
	v_mul_f32_e32 v125, 0x3f62ad3f, v81
	v_add_f32_e32 v69, v70, v69
	v_mov_b32_e32 v70, v125
	v_fmac_f32_e32 v70, 0xbeedf032, v83
	v_mul_f32_e32 v126, 0x3df6dbef, v84
	v_add_f32_e32 v69, v70, v69
	v_mov_b32_e32 v70, v126
	v_add_f32_e32 v33, v33, v54
	v_fmac_f32_e32 v70, 0x3f7e222b, v86
	v_mul_f32_e32 v127, 0xbf788fa5, v87
	v_add_f32_e32 v33, v35, v33
	v_add_f32_e32 v69, v70, v69
	v_mov_b32_e32 v70, v127
	v_add_f32_e32 v33, v41, v33
	v_fmac_f32_e32 v70, 0xbe750f2a, v89
	v_mul_f32_e32 v128, 0x3f116cb1, v90
	v_add_f32_e32 v33, v43, v33
	;; [unrolled: 6-line block ×3, first 2 shown]
	v_add_f32_e32 v70, v70, v69
	v_mov_b32_e32 v69, v129
	v_mul_f32_e32 v130, 0x3f29c268, v97
	v_add_f32_e32 v33, v37, v33
	v_fmac_f32_e32 v69, 0xbeb58ec6, v93
	v_mov_b32_e32 v71, v130
	v_add_f32_e32 v33, v39, v33
	v_add_f32_e32 v69, v53, v69
	v_fmac_f32_e32 v71, 0xbf3f9e67, v96
	v_mul_f32_e32 v131, 0x3eedf032, v100
	v_add_f32_e32 v33, v52, v33
	v_add_f32_e32 v69, v71, v69
	v_mov_b32_e32 v71, v131
	v_add_f32_e32 v33, v50, v33
	v_fmac_f32_e32 v71, 0x3f62ad3f, v99
	v_mul_f32_e32 v132, 0xbf7e222b, v103
	v_add_f32_e32 v1, v1, v33
	v_add_f32_e32 v69, v71, v69
	v_mov_b32_e32 v71, v132
	v_add_f32_e32 v1, v3, v1
	v_add_f32_e32 v3, v32, v53
	v_fmac_f32_e32 v71, 0x3df6dbef, v102
	v_mul_f32_e32 v133, 0x3e750f2a, v106
	v_add_f32_e32 v3, v34, v3
	v_add_f32_e32 v69, v71, v69
	v_mov_b32_e32 v71, v133
	v_add_f32_e32 v3, v40, v3
	v_fmac_f32_e32 v71, 0xbf788fa5, v105
	v_mul_f32_e32 v134, 0x3f52af12, v109
	v_add_f32_e32 v3, v42, v3
	v_add_f32_e32 v69, v71, v69
	v_mov_b32_e32 v71, v134
	;; [unrolled: 6-line block ×3, first 2 shown]
	v_mul_f32_e32 v136, 0xbf788fa5, v76
	v_add_f32_e32 v3, v36, v3
	v_fmac_f32_e32 v71, 0x3f7e222b, v78
	v_mov_b32_e32 v72, v136
	v_add_f32_e32 v3, v38, v3
	v_add_f32_e32 v71, v54, v71
	v_fmac_f32_e32 v72, 0x3e750f2a, v80
	v_mul_f32_e32 v137, 0xbeb58ec6, v81
	v_add_f32_e32 v3, v51, v3
	v_add_f32_e32 v71, v72, v71
	v_mov_b32_e32 v72, v137
	v_add_f32_e32 v3, v49, v3
	v_fmac_f32_e32 v72, 0xbf6f5d39, v83
	v_mul_f32_e32 v138, 0x3f62ad3f, v84
	v_add_f32_e32 v0, v0, v3
	v_fmac_f32_e32 v77, 0xbe750f2a, v78
	v_add_f32_e32 v71, v72, v71
	v_mov_b32_e32 v72, v138
	v_add_f32_e32 v0, v2, v0
	v_add_f32_e32 v2, v54, v77
	v_fmac_f32_e32 v79, 0x3eedf032, v80
	v_fmac_f32_e32 v72, 0xbeedf032, v86
	v_mul_f32_e32 v139, 0x3f116cb1, v87
	v_add_f32_e32 v2, v79, v2
	v_fmac_f32_e32 v82, 0xbf29c268, v83
	v_add_f32_e32 v71, v72, v71
	v_mov_b32_e32 v72, v139
	v_add_f32_e32 v2, v82, v2
	v_fmac_f32_e32 v85, 0x3f52af12, v86
	v_fmac_f32_e32 v72, 0x3f52af12, v89
	v_mul_f32_e32 v140, 0xbf3f9e67, v90
	v_add_f32_e32 v2, v85, v2
	v_fmac_f32_e32 v88, 0xbf6f5d39, v89
	s_mov_b32 s10, 0xbf788fa5
	v_add_f32_e32 v71, v72, v71
	v_mov_b32_e32 v72, v140
	v_add_f32_e32 v2, v88, v2
	v_fmac_f32_e32 v91, 0x3f7e222b, v92
	s_mov_b32 s12, 0x3f62ad3f
	v_fmac_f32_e32 v72, 0x3f29c268, v92
	v_mul_f32_e32 v141, 0xbf7e222b, v94
	v_add_f32_e32 v3, v91, v2
	v_fma_f32 v2, v93, s10, -v95
	s_mov_b32 s11, 0xbf3f9e67
	v_add_f32_e32 v72, v72, v71
	v_mov_b32_e32 v71, v141
	v_mul_f32_e32 v142, 0xbe750f2a, v97
	v_add_f32_e32 v2, v53, v2
	v_fma_f32 v32, v96, s12, -v98
	s_mov_b32 s13, 0x3f116cb1
	v_fmac_f32_e32 v71, 0x3df6dbef, v93
	v_mov_b32_e32 v73, v142
	v_add_f32_e32 v2, v32, v2
	v_fma_f32 v32, v99, s11, -v101
	s_mov_b32 s14, 0xbeb58ec6
	v_add_f32_e32 v71, v53, v71
	v_fmac_f32_e32 v73, 0xbf788fa5, v96
	v_mul_f32_e32 v143, 0x3f6f5d39, v100
	v_add_f32_e32 v2, v32, v2
	v_fma_f32 v32, v102, s13, -v104
	s_mov_b32 s15, 0x3df6dbef
	v_add_f32_e32 v71, v73, v71
	v_mov_b32_e32 v73, v143
	v_add_f32_e32 v2, v32, v2
	v_fma_f32 v32, v105, s14, -v107
	v_fmac_f32_e32 v73, 0xbeb58ec6, v99
	v_mul_f32_e32 v144, 0x3eedf032, v103
	v_add_f32_e32 v2, v32, v2
	v_fma_f32 v32, v108, s15, -v110
	v_fmac_f32_e32 v111, 0xbf29c268, v78
	v_add_f32_e32 v71, v73, v71
	v_mov_b32_e32 v73, v144
	v_add_f32_e32 v2, v32, v2
	v_add_f32_e32 v32, v54, v111
	v_fmac_f32_e32 v112, 0x3f7e222b, v80
	v_fmac_f32_e32 v73, 0x3f62ad3f, v102
	v_mul_f32_e32 v145, 0xbf52af12, v106
	v_add_f32_e32 v32, v112, v32
	v_fmac_f32_e32 v113, 0xbf52af12, v83
	v_add_f32_e32 v71, v73, v71
	v_mov_b32_e32 v73, v145
	v_add_f32_e32 v32, v113, v32
	v_fmac_f32_e32 v114, 0x3e750f2a, v86
	v_fmac_f32_e32 v73, 0x3f116cb1, v105
	v_mul_f32_e32 v146, 0xbf29c268, v109
	v_add_f32_e32 v32, v114, v32
	v_fmac_f32_e32 v115, 0x3eedf032, v89
	v_add_f32_e32 v71, v73, v71
	v_mov_b32_e32 v73, v146
	v_add_f32_e32 v32, v115, v32
	v_fmac_f32_e32 v116, 0xbf6f5d39, v92
	v_fmac_f32_e32 v73, 0xbf3f9e67, v108
	v_mul_f32_e32 v147, 0x3f116cb1, v75
	v_add_f32_e32 v33, v116, v32
	v_fma_f32 v32, v93, s11, -v117
	v_add_f32_e32 v71, v73, v71
	v_mov_b32_e32 v73, v147
	v_mul_f32_e32 v148, 0xbeb58ec6, v76
	v_add_f32_e32 v32, v53, v32
	v_fma_f32 v34, v96, s15, -v118
	v_fmac_f32_e32 v73, 0x3f52af12, v78
	v_mov_b32_e32 v74, v148
	v_add_f32_e32 v32, v34, v32
	v_fma_f32 v34, v99, s13, -v119
	v_add_f32_e32 v73, v54, v73
	v_fmac_f32_e32 v74, 0x3f6f5d39, v80
	v_mul_f32_e32 v149, 0xbf788fa5, v81
	v_add_f32_e32 v32, v34, v32
	v_fma_f32 v34, v102, s10, -v120
	v_add_f32_e32 v73, v74, v73
	v_mov_b32_e32 v74, v149
	v_add_f32_e32 v32, v34, v32
	v_fma_f32 v34, v105, s12, -v121
	v_fmac_f32_e32 v74, 0x3e750f2a, v83
	v_mul_f32_e32 v150, 0xbf3f9e67, v84
	v_add_f32_e32 v32, v34, v32
	v_fma_f32 v34, v108, s14, -v122
	v_fmac_f32_e32 v123, 0xbf6f5d39, v78
	v_add_f32_e32 v73, v74, v73
	v_mov_b32_e32 v74, v150
	v_add_f32_e32 v32, v34, v32
	v_add_f32_e32 v34, v54, v123
	v_fmac_f32_e32 v124, 0x3f29c268, v80
	v_fmac_f32_e32 v74, 0xbf29c268, v86
	v_mul_f32_e32 v151, 0x3df6dbef, v87
	v_add_f32_e32 v34, v124, v34
	v_fmac_f32_e32 v125, 0x3eedf032, v83
	v_add_f32_e32 v73, v74, v73
	v_mov_b32_e32 v74, v151
	v_add_f32_e32 v34, v125, v34
	v_fmac_f32_e32 v126, 0xbf7e222b, v86
	v_fmac_f32_e32 v74, 0xbf7e222b, v89
	v_mul_f32_e32 v152, 0x3f62ad3f, v90
	v_add_f32_e32 v34, v126, v34
	v_fmac_f32_e32 v127, 0x3e750f2a, v89
	v_add_f32_e32 v73, v74, v73
	v_mov_b32_e32 v74, v152
	v_add_f32_e32 v34, v127, v34
	v_fmac_f32_e32 v128, 0x3f52af12, v92
	v_fmac_f32_e32 v74, 0xbeedf032, v92
	v_mul_f32_e32 v153, 0xbf52af12, v94
	v_add_f32_e32 v35, v128, v34
	v_fma_f32 v34, v93, s14, -v129
	v_add_f32_e32 v74, v74, v73
	v_mov_b32_e32 v73, v153
	v_mul_f32_e32 v154, 0xbf6f5d39, v97
	v_add_f32_e32 v34, v53, v34
	v_fma_f32 v36, v96, s11, -v130
	v_fmac_f32_e32 v73, 0x3f116cb1, v93
	v_mov_b32_e32 v155, v154
	v_add_f32_e32 v34, v36, v34
	v_fma_f32 v36, v99, s12, -v131
	v_add_f32_e32 v73, v53, v73
	v_fmac_f32_e32 v155, 0xbeb58ec6, v96
	v_add_f32_e32 v34, v36, v34
	v_fma_f32 v36, v102, s15, -v132
	v_add_f32_e32 v73, v155, v73
	v_mul_f32_e32 v155, 0xbe750f2a, v100
	v_add_f32_e32 v34, v36, v34
	v_fma_f32 v36, v105, s10, -v133
	v_mov_b32_e32 v156, v155
	v_add_f32_e32 v34, v36, v34
	v_fma_f32 v36, v108, s13, -v134
	v_fmac_f32_e32 v135, 0xbf7e222b, v78
	v_fmac_f32_e32 v156, 0xbf788fa5, v99
	v_add_f32_e32 v34, v36, v34
	v_add_f32_e32 v36, v54, v135
	v_fmac_f32_e32 v136, 0xbe750f2a, v80
	v_add_f32_e32 v73, v156, v73
	v_mul_f32_e32 v156, 0x3f29c268, v103
	v_add_f32_e32 v36, v136, v36
	v_fmac_f32_e32 v137, 0x3f6f5d39, v83
	v_mov_b32_e32 v157, v156
	v_add_f32_e32 v36, v137, v36
	v_fmac_f32_e32 v138, 0x3eedf032, v86
	v_fmac_f32_e32 v157, 0xbf3f9e67, v102
	v_add_f32_e32 v36, v138, v36
	v_fmac_f32_e32 v139, 0xbf52af12, v89
	v_add_f32_e32 v73, v157, v73
	v_mul_f32_e32 v157, 0x3f7e222b, v106
	v_add_f32_e32 v36, v139, v36
	v_fmac_f32_e32 v140, 0xbf29c268, v92
	v_mov_b32_e32 v158, v157
	v_add_f32_e32 v37, v140, v36
	v_fma_f32 v36, v93, s15, -v141
	v_fmac_f32_e32 v158, 0x3df6dbef, v105
	v_add_f32_e32 v36, v53, v36
	v_fma_f32 v38, v96, s10, -v142
	v_add_f32_e32 v73, v158, v73
	v_mul_f32_e32 v158, 0x3eedf032, v109
	v_add_f32_e32 v36, v38, v36
	v_fma_f32 v38, v99, s14, -v143
	v_mov_b32_e32 v159, v158
	v_add_f32_e32 v36, v38, v36
	v_fma_f32 v38, v102, s12, -v144
	v_fmac_f32_e32 v159, 0x3f62ad3f, v108
	v_add_f32_e32 v36, v38, v36
	v_fma_f32 v38, v105, s13, -v145
	v_add_f32_e32 v73, v159, v73
	v_mul_f32_e32 v159, 0x3f62ad3f, v75
	v_add_f32_e32 v36, v38, v36
	v_fma_f32 v38, v108, s11, -v146
	v_fmac_f32_e32 v147, 0xbf52af12, v78
	v_mov_b32_e32 v75, v159
	v_mul_f32_e32 v160, 0x3f116cb1, v76
	v_add_f32_e32 v36, v38, v36
	v_add_f32_e32 v38, v54, v147
	v_fmac_f32_e32 v148, 0xbf6f5d39, v80
	v_fmac_f32_e32 v75, 0x3eedf032, v78
	v_mov_b32_e32 v76, v160
	v_add_f32_e32 v38, v148, v38
	v_fmac_f32_e32 v149, 0xbe750f2a, v83
	v_add_f32_e32 v75, v54, v75
	v_fmac_f32_e32 v76, 0x3f52af12, v80
	v_mul_f32_e32 v81, 0x3df6dbef, v81
	v_add_f32_e32 v38, v149, v38
	v_fmac_f32_e32 v150, 0x3f29c268, v86
	v_add_f32_e32 v75, v76, v75
	v_mov_b32_e32 v76, v81
	v_add_f32_e32 v38, v150, v38
	v_fmac_f32_e32 v151, 0x3f7e222b, v89
	v_fmac_f32_e32 v76, 0x3f7e222b, v83
	v_mul_f32_e32 v84, 0xbeb58ec6, v84
	v_add_f32_e32 v38, v151, v38
	v_fmac_f32_e32 v152, 0x3eedf032, v92
	v_add_f32_e32 v75, v76, v75
	v_mov_b32_e32 v76, v84
	v_add_f32_e32 v39, v152, v38
	v_fma_f32 v38, v93, s13, -v153
	v_fmac_f32_e32 v76, 0x3f6f5d39, v86
	v_mul_f32_e32 v87, 0xbf3f9e67, v87
	v_add_f32_e32 v38, v53, v38
	v_fma_f32 v40, v96, s14, -v154
	v_add_f32_e32 v75, v76, v75
	v_mov_b32_e32 v76, v87
	v_add_f32_e32 v38, v40, v38
	v_fma_f32 v40, v99, s10, -v155
	v_fmac_f32_e32 v76, 0x3f29c268, v89
	v_mul_f32_e32 v90, 0xbf788fa5, v90
	v_add_f32_e32 v38, v40, v38
	v_fma_f32 v40, v102, s11, -v156
	;; [unrolled: 8-line block ×3, first 2 shown]
	v_fmac_f32_e32 v159, 0xbeedf032, v78
	v_add_f32_e32 v76, v76, v75
	v_mov_b32_e32 v75, v94
	v_mul_f32_e32 v97, 0xbf52af12, v97
	v_add_f32_e32 v38, v40, v38
	v_add_f32_e32 v40, v54, v159
	v_fmac_f32_e32 v160, 0xbf52af12, v80
	v_fmac_f32_e32 v75, 0x3f62ad3f, v93
	v_mov_b32_e32 v161, v97
	v_add_f32_e32 v40, v160, v40
	v_fmac_f32_e32 v81, 0xbf7e222b, v83
	v_add_f32_e32 v75, v53, v75
	v_fmac_f32_e32 v161, 0x3f116cb1, v96
	v_mul_f32_e32 v100, 0xbf7e222b, v100
	v_add_f32_e32 v40, v81, v40
	v_fmac_f32_e32 v84, 0xbf6f5d39, v86
	v_add_f32_e32 v75, v161, v75
	v_mov_b32_e32 v161, v100
	v_add_f32_e32 v40, v84, v40
	v_fmac_f32_e32 v87, 0xbf29c268, v89
	v_fmac_f32_e32 v161, 0x3df6dbef, v99
	v_mul_f32_e32 v103, 0xbf6f5d39, v103
	v_add_f32_e32 v40, v87, v40
	v_fmac_f32_e32 v90, 0xbe750f2a, v92
	v_add_f32_e32 v75, v161, v75
	v_mov_b32_e32 v161, v103
	v_add_f32_e32 v41, v90, v40
	v_fma_f32 v40, v93, s12, -v94
	v_fmac_f32_e32 v161, 0xbeb58ec6, v102
	v_mul_f32_e32 v106, 0xbf29c268, v106
	v_add_f32_e32 v40, v53, v40
	v_fma_f32 v42, v96, s13, -v97
	v_add_f32_e32 v75, v161, v75
	v_mov_b32_e32 v161, v106
	v_add_f32_e32 v40, v42, v40
	v_fma_f32 v42, v99, s15, -v100
	v_fmac_f32_e32 v161, 0xbf3f9e67, v105
	v_mul_f32_e32 v109, 0xbe750f2a, v109
	v_add_f32_e32 v40, v42, v40
	v_fma_f32 v42, v102, s14, -v103
	v_add_f32_e32 v75, v161, v75
	v_mov_b32_e32 v161, v109
	v_add_f32_e32 v40, v42, v40
	v_fma_f32 v42, v105, s11, -v106
	v_fmac_f32_e32 v161, 0xbf788fa5, v108
	v_add_f32_e32 v40, v42, v40
	v_fma_f32 v42, v108, s10, -v109
	v_add_f32_e32 v75, v161, v75
	v_add_f32_e32 v40, v42, v40
	v_lshl_add_u32 v42, v58, 3, v57
	ds_write2_b64 v42, v[0:1], v[75:76] offset1:1
	ds_write2_b64 v42, v[73:74], v[71:72] offset0:2 offset1:3
	ds_write2_b64 v42, v[69:70], v[67:68] offset0:4 offset1:5
	ds_write2_b64 v42, v[65:66], v[2:3] offset0:6 offset1:7
	ds_write2_b64 v42, v[32:33], v[34:35] offset0:8 offset1:9
	ds_write2_b64 v42, v[36:37], v[38:39] offset0:10 offset1:11
	ds_write_b64 v42, v[40:41] offset:96
.LBB0_13:
	s_or_b64 exec, exec, s[4:5]
	s_waitcnt lgkmcnt(0)
	s_barrier
	ds_read2_b64 v[0:3], v60 offset1:39
	ds_read2_b64 v[32:35], v60 offset0:78 offset1:117
	v_add_u32_e32 v46, 0x400, v60
	ds_read2_b64 v[36:39], v46 offset0:106 offset1:145
	ds_read2_b64 v[40:43], v60 offset0:156 offset1:195
	ds_read_b64 v[44:45], v60 offset:2496
	s_waitcnt lgkmcnt(0)
	s_barrier
	v_mul_f32_e32 v47, v9, v35
	v_mul_f32_e32 v9, v9, v34
	v_fmac_f32_e32 v47, v8, v34
	v_fma_f32 v8, v8, v35, -v9
	v_mul_f32_e32 v9, v11, v37
	v_mul_f32_e32 v11, v11, v36
	v_fmac_f32_e32 v9, v10, v36
	v_fma_f32 v10, v10, v37, -v11
	;; [unrolled: 4-line block ×3, first 2 shown]
	v_mul_f32_e32 v4, v7, v38
	v_mul_f32_e32 v35, v7, v39
	v_fma_f32 v36, v6, v39, -v4
	v_mul_f32_e32 v4, v13, v42
	v_fmac_f32_e32 v35, v6, v38
	v_fma_f32 v38, v12, v43, -v4
	v_mul_f32_e32 v4, v15, v44
	v_add_f32_e32 v5, v47, v9
	v_mul_f32_e32 v39, v15, v45
	v_fma_f32 v15, v14, v45, -v4
	v_add_f32_e32 v4, v0, v47
	v_fma_f32 v0, -0.5, v5, v0
	v_sub_f32_e32 v5, v8, v10
	v_mov_b32_e32 v6, v0
	v_add_f32_e32 v7, v8, v10
	v_fmac_f32_e32 v6, 0xbf5db3d7, v5
	v_fmac_f32_e32 v0, 0x3f5db3d7, v5
	v_add_f32_e32 v5, v1, v8
	v_fma_f32 v1, -0.5, v7, v1
	v_add_f32_e32 v4, v4, v9
	v_sub_f32_e32 v8, v47, v9
	v_mov_b32_e32 v7, v1
	v_add_f32_e32 v9, v11, v35
	v_mul_f32_e32 v37, v13, v43
	v_fmac_f32_e32 v7, 0x3f5db3d7, v8
	v_fmac_f32_e32 v1, 0xbf5db3d7, v8
	v_add_f32_e32 v8, v2, v11
	v_fma_f32 v2, -0.5, v9, v2
	v_fmac_f32_e32 v37, v12, v42
	v_add_f32_e32 v5, v5, v10
	v_sub_f32_e32 v9, v34, v36
	v_mov_b32_e32 v10, v2
	v_add_f32_e32 v12, v34, v36
	v_fmac_f32_e32 v39, v14, v44
	v_fmac_f32_e32 v10, 0xbf5db3d7, v9
	;; [unrolled: 1-line block ×3, first 2 shown]
	v_add_f32_e32 v9, v3, v34
	v_fmac_f32_e32 v3, -0.5, v12
	v_sub_f32_e32 v12, v11, v35
	v_mov_b32_e32 v11, v3
	v_add_f32_e32 v13, v37, v39
	v_fmac_f32_e32 v11, 0x3f5db3d7, v12
	v_fmac_f32_e32 v3, 0xbf5db3d7, v12
	v_add_f32_e32 v12, v32, v37
	v_fma_f32 v32, -0.5, v13, v32
	v_sub_f32_e32 v13, v38, v15
	v_mov_b32_e32 v14, v32
	v_fmac_f32_e32 v14, 0xbf5db3d7, v13
	v_fmac_f32_e32 v32, 0x3f5db3d7, v13
	v_add_f32_e32 v13, v33, v38
	v_add_f32_e32 v13, v13, v15
	;; [unrolled: 1-line block ×3, first 2 shown]
	v_fmac_f32_e32 v33, -0.5, v15
	v_sub_f32_e32 v34, v37, v39
	v_mov_b32_e32 v15, v33
	v_add_f32_e32 v8, v8, v35
	v_add_f32_e32 v9, v9, v36
	;; [unrolled: 1-line block ×3, first 2 shown]
	v_fmac_f32_e32 v15, 0x3f5db3d7, v34
	v_fmac_f32_e32 v33, 0xbf5db3d7, v34
	ds_write2_b64 v62, v[4:5], v[6:7] offset1:13
	ds_write_b64 v62, v[0:1] offset:208
	ds_write2_b64 v63, v[8:9], v[10:11] offset1:13
	ds_write_b64 v63, v[2:3] offset:208
	;; [unrolled: 2-line block ×3, first 2 shown]
	s_waitcnt lgkmcnt(0)
	s_barrier
	ds_read2_b64 v[0:3], v60 offset1:39
	ds_read2_b64 v[4:7], v60 offset0:78 offset1:117
	ds_read2_b64 v[8:11], v60 offset0:156 offset1:195
	;; [unrolled: 1-line block ×3, first 2 shown]
	ds_read_b64 v[32:33], v60 offset:2496
	s_waitcnt lgkmcnt(4)
	v_mul_f32_e32 v34, v29, v3
	v_fmac_f32_e32 v34, v28, v2
	v_mul_f32_e32 v2, v29, v2
	v_fma_f32 v2, v28, v3, -v2
	s_waitcnt lgkmcnt(3)
	v_mul_f32_e32 v3, v31, v5
	v_fmac_f32_e32 v3, v30, v4
	v_mul_f32_e32 v4, v31, v4
	v_fma_f32 v4, v30, v5, -v4
	v_mul_f32_e32 v5, v25, v7
	v_fmac_f32_e32 v5, v24, v6
	v_mul_f32_e32 v6, v25, v6
	v_fma_f32 v6, v24, v7, -v6
	s_waitcnt lgkmcnt(2)
	v_mul_f32_e32 v24, v27, v9
	v_mul_f32_e32 v7, v27, v8
	v_fmac_f32_e32 v24, v26, v8
	v_fma_f32 v25, v26, v9, -v7
	v_mul_f32_e32 v26, v21, v11
	v_mul_f32_e32 v7, v21, v10
	v_fmac_f32_e32 v26, v20, v10
	v_fma_f32 v20, v20, v11, -v7
	s_waitcnt lgkmcnt(1)
	v_mul_f32_e32 v7, v23, v13
	v_fmac_f32_e32 v7, v22, v12
	v_mul_f32_e32 v8, v23, v12
	s_waitcnt lgkmcnt(0)
	v_mul_f32_e32 v11, v19, v33
	v_mul_f32_e32 v12, v19, v32
	;; [unrolled: 1-line block ×4, first 2 shown]
	v_fmac_f32_e32 v11, v18, v32
	v_fma_f32 v12, v18, v33, -v12
	v_fmac_f32_e32 v9, v16, v14
	v_fma_f32 v10, v16, v15, -v10
	v_sub_f32_e32 v14, v34, v11
	v_sub_f32_e32 v15, v2, v12
	v_fma_f32 v8, v22, v13, -v8
	v_add_f32_e32 v19, v4, v10
	v_add_f32_e32 v21, v5, v7
	v_sub_f32_e32 v23, v3, v9
	v_sub_f32_e32 v27, v4, v10
	;; [unrolled: 1-line block ×3, first 2 shown]
	v_mul_f32_e32 v5, 0x3f248dbb, v14
	v_mul_f32_e32 v4, 0x3f248dbb, v15
	v_sub_f32_e32 v30, v24, v26
	v_sub_f32_e32 v31, v25, v20
	v_add_f32_e32 v18, v3, v9
	v_add_f32_e32 v22, v6, v8
	v_sub_f32_e32 v29, v6, v8
	v_fmac_f32_e32 v5, 0x3f7c1c5c, v23
	v_fmac_f32_e32 v4, 0x3f7c1c5c, v27
	v_mul_f32_e32 v9, 0xbf248dbb, v30
	v_mul_f32_e32 v8, 0xbf248dbb, v31
	v_fmac_f32_e32 v5, 0x3f5db3d7, v28
	v_fmac_f32_e32 v4, 0x3f5db3d7, v29
	;; [unrolled: 1-line block ×4, first 2 shown]
	v_add_f32_e32 v16, v34, v11
	v_fmac_f32_e32 v5, 0x3eaf1d44, v30
	v_fmac_f32_e32 v4, 0x3eaf1d44, v31
	s_mov_b32 s4, 0xbf248dbb
	v_fmac_f32_e32 v9, 0xbf5db3d7, v28
	v_fmac_f32_e32 v8, 0xbf5db3d7, v29
	v_add_f32_e32 v10, v30, v14
	v_add_f32_e32 v11, v31, v15
	v_mul_f32_e32 v30, 0x3f7c1c5c, v30
	v_mul_f32_e32 v31, 0x3f7c1c5c, v31
	v_add_f32_e32 v17, v2, v12
	v_fmac_f32_e32 v9, 0x3eaf1d44, v23
	v_fmac_f32_e32 v8, 0x3eaf1d44, v27
	v_sub_f32_e32 v12, v10, v23
	v_sub_f32_e32 v13, v11, v27
	v_fma_f32 v23, v23, s4, -v30
	v_fma_f32 v27, v27, s4, -v31
	v_add_f32_e32 v36, v18, v16
	v_add_f32_e32 v37, v19, v17
	v_fmac_f32_e32 v23, 0x3f5db3d7, v28
	v_fmac_f32_e32 v27, 0x3f5db3d7, v29
	;; [unrolled: 1-line block ×4, first 2 shown]
	v_add_f32_e32 v14, v21, v36
	v_add_f32_e32 v15, v22, v37
	v_add_f32_e32 v14, v24, v14
	v_add_f32_e32 v15, v25, v15
	v_mov_b32_e32 v2, v0
	v_mov_b32_e32 v3, v1
	v_add_f32_e32 v14, v26, v14
	v_add_f32_e32 v15, v20, v15
	v_fmac_f32_e32 v2, 0x3f441b7d, v16
	v_fmac_f32_e32 v3, 0x3f441b7d, v17
	v_add_f32_e32 v32, v24, v26
	v_add_f32_e32 v33, v25, v20
	v_mov_b32_e32 v6, v0
	v_mov_b32_e32 v7, v1
	v_add_f32_e32 v10, v21, v0
	v_add_f32_e32 v11, v22, v1
	;; [unrolled: 1-line block ×4, first 2 shown]
	v_fmac_f32_e32 v0, 0x3f441b7d, v18
	v_fmac_f32_e32 v1, 0x3f441b7d, v19
	;; [unrolled: 1-line block ×8, first 2 shown]
	v_fmac_f32_e32 v2, -0.5, v21
	v_fmac_f32_e32 v3, -0.5, v22
	v_fmac_f32_e32 v6, 0x3e31d0d4, v16
	v_fmac_f32_e32 v7, 0x3e31d0d4, v17
	v_fmac_f32_e32 v0, -0.5, v21
	v_fmac_f32_e32 v1, -0.5, v22
	v_fmac_f32_e32 v2, 0xbf708fb2, v32
	v_fmac_f32_e32 v3, 0xbf708fb2, v33
	v_fmac_f32_e32 v6, -0.5, v21
	v_fmac_f32_e32 v7, -0.5, v22
	v_add_f32_e32 v38, v32, v36
	v_add_f32_e32 v39, v33, v37
	v_fmac_f32_e32 v0, 0xbf708fb2, v16
	v_fmac_f32_e32 v1, 0xbf708fb2, v17
	v_sub_f32_e32 v2, v2, v4
	v_add_f32_e32 v3, v5, v3
	v_fmac_f32_e32 v6, 0xbf708fb2, v18
	v_fmac_f32_e32 v7, 0xbf708fb2, v19
	v_fmac_f32_e32 v10, -0.5, v38
	v_fmac_f32_e32 v11, -0.5, v39
	v_sub_f32_e32 v0, v0, v27
	v_add_f32_e32 v1, v23, v1
	v_fma_f32 v4, 2.0, v4, v2
	v_fma_f32 v5, -2.0, v5, v3
	v_sub_f32_e32 v6, v6, v8
	v_add_f32_e32 v7, v9, v7
	v_mul_f32_e32 v34, 0x3f5db3d7, v12
	v_mul_f32_e32 v35, 0x3f5db3d7, v13
	v_fmac_f32_e32 v10, 0xbf5db3d7, v13
	v_fmac_f32_e32 v11, 0x3f5db3d7, v12
	ds_write_b64 v61, v[14:15]
	ds_write2_b64 v59, v[2:3], v[6:7] offset0:39 offset1:78
	v_mov_b32_e32 v3, v1
	v_mov_b32_e32 v2, v0
	v_fma_f32 v8, 2.0, v8, v6
	v_fma_f32 v9, -2.0, v9, v7
	v_fma_f32 v12, 2.0, v35, v10
	v_fma_f32 v13, -2.0, v34, v11
	v_fmac_f32_e32 v3, -2.0, v23
	v_fmac_f32_e32 v2, 2.0, v27
	ds_write2_b64 v59, v[10:11], v[0:1] offset0:117 offset1:156
	ds_write2_b64 v59, v[2:3], v[12:13] offset0:195 offset1:234
	v_add_u32_e32 v0, 0x800, v59
	ds_write2_b64 v0, v[8:9], v[4:5] offset0:17 offset1:56
	s_waitcnt lgkmcnt(0)
	s_barrier
	s_and_b64 exec, exec, vcc
	s_cbranch_execz .LBB0_15
; %bb.14:
	global_load_dwordx2 v[9:10], v55, s[6:7]
	global_load_dwordx2 v[11:12], v55, s[6:7] offset:216
	global_load_dwordx2 v[13:14], v55, s[6:7] offset:432
	;; [unrolled: 1-line block ×4, first 2 shown]
	ds_read_b64 v[21:22], v61
	ds_read2_b64 v[1:4], v59 offset0:27 offset1:54
	ds_read2_b64 v[5:8], v59 offset0:81 offset1:108
	global_load_dwordx2 v[25:26], v55, s[6:7] offset:1080
	global_load_dwordx2 v[27:28], v55, s[6:7] offset:1296
	;; [unrolled: 1-line block ×3, first 2 shown]
	v_mad_u64_u32 v[19:20], s[4:5], s2, v48, 0
	v_mad_u64_u32 v[23:24], s[10:11], s0, v56, 0
	s_waitcnt lgkmcnt(2)
	v_mad_u64_u32 v[31:32], s[10:11], s3, v48, v[20:21]
	v_mov_b32_e32 v34, s9
	s_mul_i32 s2, s1, 0xd8
	v_mov_b32_e32 v20, v31
	v_lshlrev_b64 v[19:20], 3, v[19:20]
	s_mul_hi_u32 s9, s0, 0xd8
	v_add_co_u32_e32 v19, vcc, s8, v19
	v_addc_co_u32_e32 v20, vcc, v34, v20, vcc
	s_mulk_i32 s0, 0xd8
	s_add_i32 s2, s9, s2
	v_mov_b32_e32 v35, s2
	s_mov_b32 s4, 0xc201756d
	s_mov_b32 s5, 0x3f6756ca
	v_mov_b32_e32 v37, s2
	s_waitcnt vmcnt(6) lgkmcnt(1)
	v_mul_f32_e32 v34, v2, v12
	v_mul_f32_e32 v12, v1, v12
	s_waitcnt vmcnt(4) lgkmcnt(0)
	v_mul_f32_e32 v36, v6, v16
	v_mul_f32_e32 v16, v5, v16
	v_fmac_f32_e32 v34, v1, v11
	s_waitcnt vmcnt(2)
	v_mad_u64_u32 v[32:33], s[10:11], s1, v56, v[24:25]
	v_mov_b32_e32 v33, s2
	v_fmac_f32_e32 v36, v5, v15
	v_mov_b32_e32 v24, v32
	v_lshlrev_b64 v[23:24], 3, v[23:24]
	v_mul_f32_e32 v38, v8, v18
	v_add_co_u32_e32 v19, vcc, v19, v23
	v_addc_co_u32_e32 v20, vcc, v20, v24, vcc
	v_add_co_u32_e32 v23, vcc, s0, v19
	v_addc_co_u32_e32 v24, vcc, v20, v35, vcc
	;; [unrolled: 2-line block ×3, first 2 shown]
	v_mul_f32_e32 v33, v22, v10
	v_mul_f32_e32 v10, v21, v10
	;; [unrolled: 1-line block ×4, first 2 shown]
	v_fmac_f32_e32 v33, v21, v9
	v_fma_f32 v9, v9, v22, -v10
	v_fma_f32 v10, v11, v2, -v12
	v_fmac_f32_e32 v35, v3, v13
	v_fma_f32 v13, v13, v4, -v14
	v_cvt_f64_f32_e32 v[1:2], v33
	v_cvt_f64_f32_e32 v[3:4], v9
	v_fma_f32 v21, v15, v6, -v16
	v_cvt_f64_f32_e32 v[5:6], v34
	v_cvt_f64_f32_e32 v[9:10], v10
	;; [unrolled: 1-line block ×4, first 2 shown]
	v_mul_f64 v[1:2], v[1:2], s[4:5]
	v_mul_f64 v[3:4], v[3:4], s[4:5]
	;; [unrolled: 1-line block ×6, first 2 shown]
	v_cvt_f64_f32_e32 v[15:16], v36
	global_load_dwordx2 v[35:36], v55, s[6:7] offset:1728
	v_cvt_f64_f32_e32 v[21:22], v21
	v_cvt_f32_f64_e32 v1, v[1:2]
	v_cvt_f32_f64_e32 v2, v[3:4]
	;; [unrolled: 1-line block ×6, first 2 shown]
	v_mul_f64 v[15:16], v[15:16], s[4:5]
	v_mul_f64 v[21:22], v[21:22], s[4:5]
	global_store_dwordx2 v[19:20], v[1:2], off
	global_store_dwordx2 v[23:24], v[3:4], off
	global_store_dwordx2 v[31:32], v[5:6], off
	global_load_dwordx2 v[5:6], v55, s[6:7] offset:1944
	v_mul_f32_e32 v1, v7, v18
	v_fma_f32 v1, v17, v8, -v1
	v_fmac_f32_e32 v38, v7, v17
	v_cvt_f64_f32_e32 v[7:8], v1
	ds_read2_b64 v[1:4], v59 offset0:135 offset1:162
	v_cvt_f32_f64_e32 v9, v[15:16]
	v_cvt_f32_f64_e32 v10, v[21:22]
	v_mul_f64 v[7:8], v[7:8], s[4:5]
	v_cvt_f64_f32_e32 v[33:34], v38
	v_add_co_u32_e32 v11, vcc, s0, v31
	v_addc_co_u32_e32 v12, vcc, v32, v37, vcc
	global_store_dwordx2 v[11:12], v[9:10], off
	s_waitcnt lgkmcnt(0)
	v_mul_f32_e32 v10, v2, v26
	v_fmac_f32_e32 v10, v1, v25
	v_mul_f64 v[33:34], v[33:34], s[4:5]
	v_cvt_f64_f32_e32 v[13:14], v10
	v_cvt_f32_f64_e32 v10, v[7:8]
	global_load_dwordx2 v[7:8], v55, s[6:7] offset:2160
	v_mov_b32_e32 v15, s2
	v_mul_f64 v[13:14], v[13:14], s[4:5]
	v_add_co_u32_e32 v11, vcc, s0, v11
	v_cvt_f32_f64_e32 v9, v[33:34]
	v_addc_co_u32_e32 v12, vcc, v12, v15, vcc
	v_mul_f32_e32 v1, v1, v26
	global_store_dwordx2 v[11:12], v[9:10], off
	v_cvt_f32_f64_e32 v9, v[13:14]
	global_load_dwordx2 v[13:14], v55, s[6:7] offset:2376
	v_fma_f32 v1, v25, v2, -v1
	v_cvt_f64_f32_e32 v[1:2], v1
	v_mov_b32_e32 v19, s2
	v_add_co_u32_e32 v11, vcc, s0, v11
	v_mul_f64 v[1:2], v[1:2], s[4:5]
	v_addc_co_u32_e32 v12, vcc, v12, v19, vcc
	v_cvt_f32_f64_e32 v10, v[1:2]
	s_waitcnt vmcnt(10)
	v_mul_f32_e32 v1, v4, v28
	v_fmac_f32_e32 v1, v3, v27
	v_cvt_f64_f32_e32 v[15:16], v1
	v_mul_f32_e32 v1, v3, v28
	v_fma_f32 v1, v27, v4, -v1
	v_cvt_f64_f32_e32 v[17:18], v1
	ds_read2_b64 v[1:4], v59 offset0:189 offset1:216
	global_store_dwordx2 v[11:12], v[9:10], off
	v_mul_f64 v[9:10], v[15:16], s[4:5]
	v_mul_f64 v[15:16], v[17:18], s[4:5]
	v_add_co_u32_e32 v11, vcc, s0, v11
	s_waitcnt vmcnt(10) lgkmcnt(0)
	v_mul_f32_e32 v17, v2, v30
	v_fmac_f32_e32 v17, v1, v29
	v_mul_f32_e32 v1, v1, v30
	v_fma_f32 v1, v29, v2, -v1
	v_cvt_f64_f32_e32 v[1:2], v1
	v_cvt_f64_f32_e32 v[17:18], v17
	v_cvt_f32_f64_e32 v9, v[9:10]
	v_cvt_f32_f64_e32 v10, v[15:16]
	v_mul_f64 v[1:2], v[1:2], s[4:5]
	v_mul_f64 v[15:16], v[17:18], s[4:5]
	v_mov_b32_e32 v17, s2
	v_addc_co_u32_e32 v12, vcc, v12, v17, vcc
	global_store_dwordx2 v[11:12], v[9:10], off
	v_add_co_u32_e32 v11, vcc, s0, v11
	v_cvt_f32_f64_e32 v10, v[1:2]
	s_waitcnt vmcnt(10)
	v_mul_f32_e32 v1, v4, v36
	v_fmac_f32_e32 v1, v3, v35
	v_cvt_f32_f64_e32 v9, v[15:16]
	v_cvt_f64_f32_e32 v[15:16], v1
	v_mul_f32_e32 v1, v3, v36
	v_fma_f32 v1, v35, v4, -v1
	v_cvt_f64_f32_e32 v[17:18], v1
	v_add_u32_e32 v1, 0x400, v59
	ds_read2_b64 v[1:4], v1 offset0:115 offset1:142
	v_addc_co_u32_e32 v12, vcc, v12, v19, vcc
	global_store_dwordx2 v[11:12], v[9:10], off
	v_mul_f64 v[9:10], v[15:16], s[4:5]
	v_mul_f64 v[15:16], v[17:18], s[4:5]
	s_waitcnt vmcnt(7) lgkmcnt(0)
	v_mul_f32_e32 v17, v2, v6
	v_fmac_f32_e32 v17, v1, v5
	v_mul_f32_e32 v1, v1, v6
	v_fma_f32 v1, v5, v2, -v1
	v_cvt_f64_f32_e32 v[1:2], v1
	v_cvt_f64_f32_e32 v[17:18], v17
	v_cvt_f32_f64_e32 v5, v[9:10]
	v_cvt_f32_f64_e32 v6, v[15:16]
	v_mul_f64 v[1:2], v[1:2], s[4:5]
	v_mul_f64 v[9:10], v[17:18], s[4:5]
	v_mov_b32_e32 v15, s2
	v_add_co_u32_e32 v11, vcc, s0, v11
	v_addc_co_u32_e32 v12, vcc, v12, v15, vcc
	global_store_dwordx2 v[11:12], v[5:6], off
	v_cvt_f32_f64_e32 v6, v[1:2]
	s_waitcnt vmcnt(6)
	v_mul_f32_e32 v1, v4, v8
	v_fmac_f32_e32 v1, v3, v7
	v_cvt_f32_f64_e32 v5, v[9:10]
	v_cvt_f64_f32_e32 v[9:10], v1
	v_mul_f32_e32 v1, v3, v8
	v_fma_f32 v1, v7, v4, -v1
	v_cvt_f64_f32_e32 v[7:8], v1
	ds_read2_b64 v[0:3], v0 offset0:41 offset1:68
	v_add_co_u32_e32 v11, vcc, s0, v11
	v_addc_co_u32_e32 v12, vcc, v12, v15, vcc
	global_store_dwordx2 v[11:12], v[5:6], off
	v_mul_f64 v[4:5], v[9:10], s[4:5]
	v_mul_f64 v[6:7], v[7:8], s[4:5]
	s_waitcnt vmcnt(5) lgkmcnt(0)
	v_mul_f32_e32 v8, v1, v14
	v_fmac_f32_e32 v8, v0, v13
	v_mul_f32_e32 v0, v0, v14
	v_fma_f32 v0, v13, v1, -v0
	v_cvt_f64_f32_e32 v[8:9], v8
	v_cvt_f64_f32_e32 v[0:1], v0
	v_cvt_f32_f64_e32 v4, v[4:5]
	v_cvt_f32_f64_e32 v5, v[6:7]
	v_mul_f64 v[6:7], v[8:9], s[4:5]
	v_mul_f64 v[0:1], v[0:1], s[4:5]
	v_mov_b32_e32 v9, s2
	v_add_co_u32_e32 v8, vcc, s0, v11
	v_addc_co_u32_e32 v9, vcc, v12, v9, vcc
	global_store_dwordx2 v[8:9], v[4:5], off
	v_cvt_f32_f64_e32 v4, v[6:7]
	v_cvt_f32_f64_e32 v5, v[0:1]
	v_mov_b32_e32 v1, s2
	v_add_co_u32_e32 v0, vcc, s0, v8
	v_addc_co_u32_e32 v1, vcc, v9, v1, vcc
	global_store_dwordx2 v[0:1], v[4:5], off
	global_load_dwordx2 v[4:5], v55, s[6:7] offset:2592
	v_add_co_u32_e32 v0, vcc, s0, v0
	s_waitcnt vmcnt(0)
	v_mul_f32_e32 v6, v3, v5
	v_fmac_f32_e32 v6, v2, v4
	v_mul_f32_e32 v2, v2, v5
	v_fma_f32 v2, v4, v3, -v2
	v_cvt_f64_f32_e32 v[6:7], v6
	v_cvt_f64_f32_e32 v[2:3], v2
	v_mul_f64 v[4:5], v[6:7], s[4:5]
	v_mul_f64 v[2:3], v[2:3], s[4:5]
	v_cvt_f32_f64_e32 v4, v[4:5]
	v_cvt_f32_f64_e32 v5, v[2:3]
	v_mov_b32_e32 v2, s2
	v_addc_co_u32_e32 v1, vcc, v1, v2, vcc
	global_store_dwordx2 v[0:1], v[4:5], off
.LBB0_15:
	s_endpgm
	.section	.rodata,"a",@progbits
	.p2align	6, 0x0
	.amdhsa_kernel bluestein_single_fwd_len351_dim1_sp_op_CI_CI
		.amdhsa_group_segment_fixed_size 8424
		.amdhsa_private_segment_fixed_size 0
		.amdhsa_kernarg_size 104
		.amdhsa_user_sgpr_count 6
		.amdhsa_user_sgpr_private_segment_buffer 1
		.amdhsa_user_sgpr_dispatch_ptr 0
		.amdhsa_user_sgpr_queue_ptr 0
		.amdhsa_user_sgpr_kernarg_segment_ptr 1
		.amdhsa_user_sgpr_dispatch_id 0
		.amdhsa_user_sgpr_flat_scratch_init 0
		.amdhsa_user_sgpr_private_segment_size 0
		.amdhsa_uses_dynamic_stack 0
		.amdhsa_system_sgpr_private_segment_wavefront_offset 0
		.amdhsa_system_sgpr_workgroup_id_x 1
		.amdhsa_system_sgpr_workgroup_id_y 0
		.amdhsa_system_sgpr_workgroup_id_z 0
		.amdhsa_system_sgpr_workgroup_info 0
		.amdhsa_system_vgpr_workitem_id 0
		.amdhsa_next_free_vgpr 162
		.amdhsa_next_free_sgpr 16
		.amdhsa_reserve_vcc 1
		.amdhsa_reserve_flat_scratch 0
		.amdhsa_float_round_mode_32 0
		.amdhsa_float_round_mode_16_64 0
		.amdhsa_float_denorm_mode_32 3
		.amdhsa_float_denorm_mode_16_64 3
		.amdhsa_dx10_clamp 1
		.amdhsa_ieee_mode 1
		.amdhsa_fp16_overflow 0
		.amdhsa_exception_fp_ieee_invalid_op 0
		.amdhsa_exception_fp_denorm_src 0
		.amdhsa_exception_fp_ieee_div_zero 0
		.amdhsa_exception_fp_ieee_overflow 0
		.amdhsa_exception_fp_ieee_underflow 0
		.amdhsa_exception_fp_ieee_inexact 0
		.amdhsa_exception_int_div_zero 0
	.end_amdhsa_kernel
	.text
.Lfunc_end0:
	.size	bluestein_single_fwd_len351_dim1_sp_op_CI_CI, .Lfunc_end0-bluestein_single_fwd_len351_dim1_sp_op_CI_CI
                                        ; -- End function
	.section	.AMDGPU.csdata,"",@progbits
; Kernel info:
; codeLenInByte = 12144
; NumSgprs: 20
; NumVgprs: 162
; ScratchSize: 0
; MemoryBound: 0
; FloatMode: 240
; IeeeMode: 1
; LDSByteSize: 8424 bytes/workgroup (compile time only)
; SGPRBlocks: 2
; VGPRBlocks: 40
; NumSGPRsForWavesPerEU: 20
; NumVGPRsForWavesPerEU: 162
; Occupancy: 1
; WaveLimiterHint : 1
; COMPUTE_PGM_RSRC2:SCRATCH_EN: 0
; COMPUTE_PGM_RSRC2:USER_SGPR: 6
; COMPUTE_PGM_RSRC2:TRAP_HANDLER: 0
; COMPUTE_PGM_RSRC2:TGID_X_EN: 1
; COMPUTE_PGM_RSRC2:TGID_Y_EN: 0
; COMPUTE_PGM_RSRC2:TGID_Z_EN: 0
; COMPUTE_PGM_RSRC2:TIDIG_COMP_CNT: 0
	.type	__hip_cuid_39df7d4499d35a9d,@object ; @__hip_cuid_39df7d4499d35a9d
	.section	.bss,"aw",@nobits
	.globl	__hip_cuid_39df7d4499d35a9d
__hip_cuid_39df7d4499d35a9d:
	.byte	0                               ; 0x0
	.size	__hip_cuid_39df7d4499d35a9d, 1

	.ident	"AMD clang version 19.0.0git (https://github.com/RadeonOpenCompute/llvm-project roc-6.4.0 25133 c7fe45cf4b819c5991fe208aaa96edf142730f1d)"
	.section	".note.GNU-stack","",@progbits
	.addrsig
	.addrsig_sym __hip_cuid_39df7d4499d35a9d
	.amdgpu_metadata
---
amdhsa.kernels:
  - .args:
      - .actual_access:  read_only
        .address_space:  global
        .offset:         0
        .size:           8
        .value_kind:     global_buffer
      - .actual_access:  read_only
        .address_space:  global
        .offset:         8
        .size:           8
        .value_kind:     global_buffer
      - .actual_access:  read_only
        .address_space:  global
        .offset:         16
        .size:           8
        .value_kind:     global_buffer
      - .actual_access:  read_only
        .address_space:  global
        .offset:         24
        .size:           8
        .value_kind:     global_buffer
      - .actual_access:  read_only
        .address_space:  global
        .offset:         32
        .size:           8
        .value_kind:     global_buffer
      - .offset:         40
        .size:           8
        .value_kind:     by_value
      - .address_space:  global
        .offset:         48
        .size:           8
        .value_kind:     global_buffer
      - .address_space:  global
        .offset:         56
        .size:           8
        .value_kind:     global_buffer
      - .address_space:  global
        .offset:         64
        .size:           8
        .value_kind:     global_buffer
      - .address_space:  global
        .offset:         72
        .size:           8
        .value_kind:     global_buffer
      - .offset:         80
        .size:           4
        .value_kind:     by_value
      - .address_space:  global
        .offset:         88
        .size:           8
        .value_kind:     global_buffer
      - .address_space:  global
        .offset:         96
        .size:           8
        .value_kind:     global_buffer
    .group_segment_fixed_size: 8424
    .kernarg_segment_align: 8
    .kernarg_segment_size: 104
    .language:       OpenCL C
    .language_version:
      - 2
      - 0
    .max_flat_workgroup_size: 117
    .name:           bluestein_single_fwd_len351_dim1_sp_op_CI_CI
    .private_segment_fixed_size: 0
    .sgpr_count:     20
    .sgpr_spill_count: 0
    .symbol:         bluestein_single_fwd_len351_dim1_sp_op_CI_CI.kd
    .uniform_work_group_size: 1
    .uses_dynamic_stack: false
    .vgpr_count:     162
    .vgpr_spill_count: 0
    .wavefront_size: 64
amdhsa.target:   amdgcn-amd-amdhsa--gfx906
amdhsa.version:
  - 1
  - 2
...

	.end_amdgpu_metadata
